;; amdgpu-corpus repo=zjin-lcf/HeCBench kind=compiled arch=gfx1250 opt=O3
	.amdgcn_target "amdgcn-amd-amdhsa--gfx1250"
	.amdhsa_code_object_version 6
	.section	.text._Z30fast_hadamard_transform_kernelI37fast_hadamard_transform_kernel_traitsILi1ELi3EfEEv18HadamardParamsBase,"axG",@progbits,_Z30fast_hadamard_transform_kernelI37fast_hadamard_transform_kernel_traitsILi1ELi3EfEEv18HadamardParamsBase,comdat
	.protected	_Z30fast_hadamard_transform_kernelI37fast_hadamard_transform_kernel_traitsILi1ELi3EfEEv18HadamardParamsBase ; -- Begin function _Z30fast_hadamard_transform_kernelI37fast_hadamard_transform_kernel_traitsILi1ELi3EfEEv18HadamardParamsBase
	.globl	_Z30fast_hadamard_transform_kernelI37fast_hadamard_transform_kernel_traitsILi1ELi3EfEEv18HadamardParamsBase
	.p2align	8
	.type	_Z30fast_hadamard_transform_kernelI37fast_hadamard_transform_kernel_traitsILi1ELi3EfEEv18HadamardParamsBase,@function
_Z30fast_hadamard_transform_kernelI37fast_hadamard_transform_kernel_traitsILi1ELi3EfEEv18HadamardParamsBase: ; @_Z30fast_hadamard_transform_kernelI37fast_hadamard_transform_kernel_traitsILi1ELi3EfEEv18HadamardParamsBase
; %bb.0:
	s_clause 0x2
	s_load_b128 s[8:11], s[0:1], 0x10
	s_load_b32 s19, s[0:1], 0x4
	s_load_b128 s[4:7], s[0:1], 0x28
	s_bfe_u32 s3, ttmp6, 0x4000c
	s_load_b32 s24, s[0:1], 0x44
	s_add_co_i32 s3, s3, 1
	s_and_b32 s2, ttmp6, 15
	s_mul_i32 s3, ttmp9, s3
	s_getreg_b32 s12, hwreg(HW_REG_IB_STS2, 6, 4)
	s_add_co_i32 s2, s2, s3
	s_cmp_eq_u32 s12, 0
	s_mov_b32 s18, 0
	s_cselect_b32 s16, ttmp9, s2
	s_mov_b32 s22, 0
	s_ashr_i32 s17, s16, 31
	s_mov_b32 s23, 0
	s_mov_b32 s21, 0
	;; [unrolled: 1-line block ×5, first 2 shown]
	s_wait_kmcnt 0x0
	s_mul_u64 s[2:3], s[8:9], s[16:17]
	s_delay_alu instid0(SALU_CYCLE_1)
	s_lshl_b64 s[2:3], s[2:3], 2
	s_cmp_lg_u32 s19, 0
	s_add_nc_u64 s[2:3], s[4:5], s[2:3]
	s_cselect_b32 s5, -1, 0
	s_cmp_eq_u32 s19, 0
	s_cbranch_scc1 .LBB0_2
; %bb.1:
	s_load_b128 s[12:15], s[2:3], 0x0
	s_wait_kmcnt 0x0
	s_mov_b32 s22, s13
	s_mov_b32 s23, s14
	;; [unrolled: 1-line block ×5, first 2 shown]
.LBB0_2:
	s_load_b32 s4, s[0:1], 0x20
	s_and_b32 s14, 0xffff, s24
	s_mov_b32 s9, 0
	s_wait_xcnt 0x0
	s_lshl_b32 s0, s14, 2
	s_mov_b32 s8, 0
	s_cmp_lt_u32 s0, s19
	s_mov_b32 s1, 0
	s_cselect_b32 s15, -1, 0
	s_cmp_ge_u32 s0, s19
	s_mov_b32 s19, 0
	s_mov_b32 s0, 0
	s_cbranch_scc1 .LBB0_4
; %bb.3:
	s_load_b128 s[0:3], s[2:3], s14 offset:0x0 scale_offset
	s_wait_kmcnt 0x0
	s_mov_b32 s18, s1
	s_mov_b32 s19, s2
	;; [unrolled: 1-line block ×5, first 2 shown]
.LBB0_4:
	s_mov_b32 s2, s21
	s_mov_b32 s3, s12
	v_mov_b64_e32 v[0:1], s[22:23]
	v_mov_b64_e32 v[2:3], s[2:3]
	s_mov_b32 s2, s9
	s_mov_b32 s3, s0
	v_mov_b64_e32 v[8:9], s[18:19]
	v_mov_b64_e32 v[10:11], s[2:3]
	;; [unrolled: 1-line block ×4, first 2 shown]
	v_pk_add_f32 v[4:5], v[0:1], v[2:3]
	v_pk_add_f32 v[6:7], v[0:1], v[2:3] neg_lo:[0,1] neg_hi:[0,1]
	v_mov_b64_e32 v[0:1], s[20:21]
	v_mov_b64_e32 v[2:3], s[12:13]
	v_pk_add_f32 v[18:19], v[8:9], v[10:11] neg_lo:[0,1] neg_hi:[0,1]
	v_pk_add_f32 v[8:9], v[8:9], v[10:11]
	v_pk_add_f32 v[22:23], v[12:13], v[14:15] neg_lo:[0,1] neg_hi:[0,1]
	v_pk_add_f32 v[10:11], v[12:13], v[14:15]
	s_mul_u64 s[0:1], s[10:11], s[16:17]
	v_mov_b32_e32 v9, v19
	v_pk_add_f32 v[16:17], v[0:1], v[2:3] neg_lo:[0,1] neg_hi:[0,1]
	v_pk_add_f32 v[20:21], v[0:1], v[2:3]
	v_dual_mov_b32 v5, v7 :: v_dual_mov_b32 v11, v23
	s_lshl_b64 s[0:1], s[0:1], 2
	s_delay_alu instid0(VALU_DEP_3)
	v_mov_b32_e32 v21, v17
	s_add_nc_u64 s[0:1], s[6:7], s[0:1]
	s_and_not1_b32 vcc_lo, exec_lo, s5
	v_pk_add_f32 v[2:3], v[8:9], v[10:11]
	v_dual_mov_b32 v9, v23 :: v_dual_mov_b32 v11, v19
	v_pk_add_f32 v[0:1], v[4:5], v[20:21]
	v_dual_mov_b32 v5, v17 :: v_dual_mov_b32 v21, v7
	s_wait_kmcnt 0x0
	s_mov_b32 s5, s4
	v_pk_add_f32 v[6:7], v[8:9], v[10:11] neg_lo:[0,1] neg_hi:[0,1]
	s_delay_alu instid0(VALU_DEP_2)
	v_pk_add_f32 v[4:5], v[4:5], v[20:21] neg_lo:[0,1] neg_hi:[0,1]
	s_cbranch_vccz .LBB0_7
; %bb.5:
	s_and_not1_b32 vcc_lo, exec_lo, s15
	s_cbranch_vccz .LBB0_8
.LBB0_6:
	s_endpgm
.LBB0_7:
	v_mov_b64_e32 v[10:11], s[4:5]
	v_pk_add_f32 v[8:9], v[0:1], v[2:3]
	s_delay_alu instid0(VALU_DEP_3) | instskip(SKIP_1) | instid1(VALU_DEP_3)
	v_pk_add_f32 v[12:13], v[4:5], v[6:7]
	v_mov_b32_e32 v14, 0
	v_pk_mul_f32 v[8:9], v[10:11], v[8:9]
	s_delay_alu instid0(VALU_DEP_3)
	v_pk_mul_f32 v[10:11], v[10:11], v[12:13]
	global_store_b128 v14, v[8:11], s[0:1]
	s_and_not1_b32 vcc_lo, exec_lo, s15
	s_cbranch_vccnz .LBB0_6
.LBB0_8:
	v_pk_add_f32 v[0:1], v[0:1], v[2:3] neg_lo:[0,1] neg_hi:[0,1]
	v_mov_b64_e32 v[2:3], s[4:5]
	v_pk_add_f32 v[4:5], v[4:5], v[6:7] neg_lo:[0,1] neg_hi:[0,1]
	s_delay_alu instid0(VALU_DEP_2) | instskip(NEXT) | instid1(VALU_DEP_2)
	v_pk_mul_f32 v[0:1], v[2:3], v[0:1]
	v_pk_mul_f32 v[2:3], v[2:3], v[4:5]
	v_mov_b32_e32 v4, s14
	global_store_b128 v4, v[0:3], s[0:1] scale_offset
	s_endpgm
	.section	.rodata,"a",@progbits
	.p2align	6, 0x0
	.amdhsa_kernel _Z30fast_hadamard_transform_kernelI37fast_hadamard_transform_kernel_traitsILi1ELi3EfEEv18HadamardParamsBase
		.amdhsa_group_segment_fixed_size 0
		.amdhsa_private_segment_fixed_size 0
		.amdhsa_kernarg_size 312
		.amdhsa_user_sgpr_count 2
		.amdhsa_user_sgpr_dispatch_ptr 0
		.amdhsa_user_sgpr_queue_ptr 0
		.amdhsa_user_sgpr_kernarg_segment_ptr 1
		.amdhsa_user_sgpr_dispatch_id 0
		.amdhsa_user_sgpr_kernarg_preload_length 0
		.amdhsa_user_sgpr_kernarg_preload_offset 0
		.amdhsa_user_sgpr_private_segment_size 0
		.amdhsa_wavefront_size32 1
		.amdhsa_uses_dynamic_stack 0
		.amdhsa_enable_private_segment 0
		.amdhsa_system_sgpr_workgroup_id_x 1
		.amdhsa_system_sgpr_workgroup_id_y 0
		.amdhsa_system_sgpr_workgroup_id_z 0
		.amdhsa_system_sgpr_workgroup_info 0
		.amdhsa_system_vgpr_workitem_id 0
		.amdhsa_next_free_vgpr 24
		.amdhsa_next_free_sgpr 25
		.amdhsa_named_barrier_count 0
		.amdhsa_reserve_vcc 1
		.amdhsa_float_round_mode_32 0
		.amdhsa_float_round_mode_16_64 0
		.amdhsa_float_denorm_mode_32 3
		.amdhsa_float_denorm_mode_16_64 3
		.amdhsa_fp16_overflow 0
		.amdhsa_memory_ordered 1
		.amdhsa_forward_progress 1
		.amdhsa_inst_pref_size 5
		.amdhsa_round_robin_scheduling 0
		.amdhsa_exception_fp_ieee_invalid_op 0
		.amdhsa_exception_fp_denorm_src 0
		.amdhsa_exception_fp_ieee_div_zero 0
		.amdhsa_exception_fp_ieee_overflow 0
		.amdhsa_exception_fp_ieee_underflow 0
		.amdhsa_exception_fp_ieee_inexact 0
		.amdhsa_exception_int_div_zero 0
	.end_amdhsa_kernel
	.section	.text._Z30fast_hadamard_transform_kernelI37fast_hadamard_transform_kernel_traitsILi1ELi3EfEEv18HadamardParamsBase,"axG",@progbits,_Z30fast_hadamard_transform_kernelI37fast_hadamard_transform_kernel_traitsILi1ELi3EfEEv18HadamardParamsBase,comdat
.Lfunc_end0:
	.size	_Z30fast_hadamard_transform_kernelI37fast_hadamard_transform_kernel_traitsILi1ELi3EfEEv18HadamardParamsBase, .Lfunc_end0-_Z30fast_hadamard_transform_kernelI37fast_hadamard_transform_kernel_traitsILi1ELi3EfEEv18HadamardParamsBase
                                        ; -- End function
	.set _Z30fast_hadamard_transform_kernelI37fast_hadamard_transform_kernel_traitsILi1ELi3EfEEv18HadamardParamsBase.num_vgpr, 24
	.set _Z30fast_hadamard_transform_kernelI37fast_hadamard_transform_kernel_traitsILi1ELi3EfEEv18HadamardParamsBase.num_agpr, 0
	.set _Z30fast_hadamard_transform_kernelI37fast_hadamard_transform_kernel_traitsILi1ELi3EfEEv18HadamardParamsBase.numbered_sgpr, 25
	.set _Z30fast_hadamard_transform_kernelI37fast_hadamard_transform_kernel_traitsILi1ELi3EfEEv18HadamardParamsBase.num_named_barrier, 0
	.set _Z30fast_hadamard_transform_kernelI37fast_hadamard_transform_kernel_traitsILi1ELi3EfEEv18HadamardParamsBase.private_seg_size, 0
	.set _Z30fast_hadamard_transform_kernelI37fast_hadamard_transform_kernel_traitsILi1ELi3EfEEv18HadamardParamsBase.uses_vcc, 1
	.set _Z30fast_hadamard_transform_kernelI37fast_hadamard_transform_kernel_traitsILi1ELi3EfEEv18HadamardParamsBase.uses_flat_scratch, 0
	.set _Z30fast_hadamard_transform_kernelI37fast_hadamard_transform_kernel_traitsILi1ELi3EfEEv18HadamardParamsBase.has_dyn_sized_stack, 0
	.set _Z30fast_hadamard_transform_kernelI37fast_hadamard_transform_kernel_traitsILi1ELi3EfEEv18HadamardParamsBase.has_recursion, 0
	.set _Z30fast_hadamard_transform_kernelI37fast_hadamard_transform_kernel_traitsILi1ELi3EfEEv18HadamardParamsBase.has_indirect_call, 0
	.section	.AMDGPU.csdata,"",@progbits
; Kernel info:
; codeLenInByte = 628
; TotalNumSgprs: 27
; NumVgprs: 24
; ScratchSize: 0
; MemoryBound: 0
; FloatMode: 240
; IeeeMode: 1
; LDSByteSize: 0 bytes/workgroup (compile time only)
; SGPRBlocks: 0
; VGPRBlocks: 1
; NumSGPRsForWavesPerEU: 27
; NumVGPRsForWavesPerEU: 24
; NamedBarCnt: 0
; Occupancy: 16
; WaveLimiterHint : 0
; COMPUTE_PGM_RSRC2:SCRATCH_EN: 0
; COMPUTE_PGM_RSRC2:USER_SGPR: 2
; COMPUTE_PGM_RSRC2:TRAP_HANDLER: 0
; COMPUTE_PGM_RSRC2:TGID_X_EN: 1
; COMPUTE_PGM_RSRC2:TGID_Y_EN: 0
; COMPUTE_PGM_RSRC2:TGID_Z_EN: 0
; COMPUTE_PGM_RSRC2:TIDIG_COMP_CNT: 0
	.section	.text._Z30fast_hadamard_transform_kernelI37fast_hadamard_transform_kernel_traitsILi2ELi4EfEEv18HadamardParamsBase,"axG",@progbits,_Z30fast_hadamard_transform_kernelI37fast_hadamard_transform_kernel_traitsILi2ELi4EfEEv18HadamardParamsBase,comdat
	.protected	_Z30fast_hadamard_transform_kernelI37fast_hadamard_transform_kernel_traitsILi2ELi4EfEEv18HadamardParamsBase ; -- Begin function _Z30fast_hadamard_transform_kernelI37fast_hadamard_transform_kernel_traitsILi2ELi4EfEEv18HadamardParamsBase
	.globl	_Z30fast_hadamard_transform_kernelI37fast_hadamard_transform_kernel_traitsILi2ELi4EfEEv18HadamardParamsBase
	.p2align	8
	.type	_Z30fast_hadamard_transform_kernelI37fast_hadamard_transform_kernel_traitsILi2ELi4EfEEv18HadamardParamsBase,@function
_Z30fast_hadamard_transform_kernelI37fast_hadamard_transform_kernel_traitsILi2ELi4EfEEv18HadamardParamsBase: ; @_Z30fast_hadamard_transform_kernelI37fast_hadamard_transform_kernel_traitsILi2ELi4EfEEv18HadamardParamsBase
; %bb.0:
	s_clause 0x3
	s_load_b128 s[4:7], s[0:1], 0x10
	s_load_b32 s3, s[0:1], 0x4
	s_load_b128 s[8:11], s[0:1], 0x28
	s_load_b32 s14, s[0:1], 0x44
	s_bfe_u32 s12, ttmp6, 0x4000c
	s_and_b32 s2, ttmp6, 15
	s_add_co_i32 s12, s12, 1
	s_getreg_b32 s13, hwreg(HW_REG_IB_STS2, 6, 4)
	s_mul_i32 s12, ttmp9, s12
	v_dual_mov_b32 v10, 0 :: v_dual_lshlrev_b32 v1, 2, v0
	s_add_co_i32 s2, s2, s12
	s_cmp_eq_u32 s13, 0
	v_dual_mov_b32 v12, 0 :: v_dual_mov_b32 v13, 0
	s_cselect_b32 s12, ttmp9, s2
	v_dual_mov_b32 v4, 0 :: v_dual_mov_b32 v5, 0
	s_ashr_i32 s13, s12, 31
	s_wait_kmcnt 0x0
	s_mul_u64 s[4:5], s[4:5], s[12:13]
	v_cmp_gt_u32_e32 vcc_lo, s3, v1
	s_lshl_b64 s[4:5], s[4:5], 2
	s_delay_alu instid0(SALU_CYCLE_1)
	s_add_nc_u64 s[4:5], s[8:9], s[4:5]
	s_and_saveexec_b32 s2, vcc_lo
	s_cbranch_execz .LBB1_2
; %bb.1:
	global_load_b128 v[2:5], v0, s[4:5] scale_offset
	s_wait_loadcnt 0x0
	v_dual_mov_b32 v12, v2 :: v_dual_mov_b32 v13, v4
	v_mov_b32_e32 v4, v3
.LBB1_2:
	s_or_b32 exec_lo, exec_lo, s2
	s_load_b32 s2, s[0:1], 0x20
	s_wait_xcnt 0x0
	s_and_b32 s0, 0xffff, s14
	s_delay_alu instid0(SALU_CYCLE_1) | instskip(SKIP_1) | instid1(VALU_DEP_2)
	v_dual_mov_b32 v11, 0 :: v_dual_add_nc_u32 v1, s0, v0
	v_dual_mov_b32 v9, 0 :: v_dual_mov_b32 v8, 0
	v_lshlrev_b32_e32 v2, 2, v1
	s_delay_alu instid0(VALU_DEP_1)
	v_cmp_gt_u32_e64 s0, s3, v2
	s_and_saveexec_b32 s1, s0
	s_cbranch_execz .LBB1_4
; %bb.3:
	global_load_b128 v[6:9], v1, s[4:5] scale_offset
	s_wait_loadcnt 0x0
	v_dual_mov_b32 v10, v6 :: v_dual_mov_b32 v11, v8
	v_mov_b32_e32 v8, v7
.LBB1_4:
	s_or_b32 exec_lo, exec_lo, s1
	v_mbcnt_lo_u32_b32 v14, -1, 0
	v_pk_add_f32 v[2:3], v[12:13], v[4:5]
	v_pk_add_f32 v[4:5], v[12:13], v[4:5] neg_lo:[0,1] neg_hi:[0,1]
	v_pk_add_f32 v[6:7], v[10:11], v[8:9]
	v_pk_add_f32 v[8:9], v[10:11], v[8:9] neg_lo:[0,1] neg_hi:[0,1]
	s_delay_alu instid0(VALU_DEP_4) | instskip(NEXT) | instid1(VALU_DEP_4)
	v_dual_mov_b32 v10, v2 :: v_dual_bitop2_b32 v15, 1, v14 bitop3:0x14
	v_dual_mov_b32 v11, v5 :: v_dual_mov_b32 v12, v3
	s_delay_alu instid0(VALU_DEP_3) | instskip(NEXT) | instid1(VALU_DEP_3)
	v_dual_mov_b32 v16, v7 :: v_dual_mov_b32 v17, v8
	v_cmp_gt_i32_e64 s1, 32, v15
	v_dual_mov_b32 v13, v4 :: v_dual_mov_b32 v4, v3
	v_dual_mov_b32 v3, v8 :: v_dual_mov_b32 v8, v7
	s_delay_alu instid0(VALU_DEP_3) | instskip(SKIP_1) | instid1(VALU_DEP_4)
	v_cndmask_b32_e64 v18, v14, v15, s1
	v_dual_mov_b32 v14, v6 :: v_dual_mov_b32 v15, v9
	v_pk_add_f32 v[10:11], v[10:11], v[12:13]
	s_delay_alu instid0(VALU_DEP_3) | instskip(SKIP_1) | instid1(VALU_DEP_4)
	v_dual_mov_b32 v12, v2 :: v_dual_lshlrev_b32 v18, 2, v18
	v_mov_b32_e32 v2, v6
	v_pk_add_f32 v[6:7], v[14:15], v[16:17]
	v_cmp_eq_u32_e64 s1, 0, v0
	s_delay_alu instid0(VALU_DEP_4)
	v_pk_add_f32 v[4:5], v[12:13], v[4:5] neg_lo:[0,1] neg_hi:[0,1]
	ds_bpermute_b32 v14, v18, v10
	v_pk_add_f32 v[2:3], v[2:3], v[8:9] neg_lo:[0,1] neg_hi:[0,1]
	ds_bpermute_b32 v15, v18, v11
	ds_bpermute_b32 v8, v18, v6
	;; [unrolled: 1-line block ×7, first 2 shown]
	v_dual_cndmask_b32 v11, -v11, v11, s1 :: v_dual_cndmask_b32 v10, -v10, v10, s1
	v_dual_cndmask_b32 v7, -v7, v7, s1 :: v_dual_cndmask_b32 v6, -v6, v6, s1
	;; [unrolled: 1-line block ×4, first 2 shown]
	s_mul_u64 s[4:5], s[6:7], s[12:13]
	s_wait_kmcnt 0x0
	s_mov_b32 s3, s2
	s_lshl_b64 s[4:5], s[4:5], 2
	s_delay_alu instid0(SALU_CYCLE_1)
	s_add_nc_u64 s[4:5], s[10:11], s[4:5]
	s_wait_dscnt 0x6
	v_pk_add_f32 v[4:5], v[10:11], v[14:15]
	s_wait_dscnt 0x4
	v_pk_add_f32 v[6:7], v[6:7], v[8:9]
	s_wait_dscnt 0x2
	v_pk_add_f32 v[2:3], v[18:19], v[12:13]
	s_wait_dscnt 0x0
	v_pk_add_f32 v[8:9], v[20:21], v[16:17]
	s_and_saveexec_b32 s1, vcc_lo
	s_cbranch_execnz .LBB1_7
; %bb.5:
	s_or_b32 exec_lo, exec_lo, s1
	s_and_saveexec_b32 s1, s0
	s_cbranch_execnz .LBB1_8
.LBB1_6:
	s_endpgm
.LBB1_7:
	v_mov_b64_e32 v[12:13], s[2:3]
	v_pk_add_f32 v[10:11], v[4:5], v[6:7]
	v_pk_add_f32 v[14:15], v[2:3], v[8:9]
	s_delay_alu instid0(VALU_DEP_2) | instskip(NEXT) | instid1(VALU_DEP_2)
	v_pk_mul_f32 v[10:11], v[12:13], v[10:11]
	v_pk_mul_f32 v[12:13], v[12:13], v[14:15]
	global_store_b128 v0, v[10:13], s[4:5] scale_offset
	s_wait_xcnt 0x0
	s_or_b32 exec_lo, exec_lo, s1
	s_and_saveexec_b32 s1, s0
	s_cbranch_execz .LBB1_6
.LBB1_8:
	v_pk_add_f32 v[4:5], v[4:5], v[6:7] neg_lo:[0,1] neg_hi:[0,1]
	v_mov_b64_e32 v[6:7], s[2:3]
	v_pk_add_f32 v[8:9], v[2:3], v[8:9] neg_lo:[0,1] neg_hi:[0,1]
	s_delay_alu instid0(VALU_DEP_2) | instskip(NEXT) | instid1(VALU_DEP_2)
	v_pk_mul_f32 v[2:3], v[6:7], v[4:5]
	v_pk_mul_f32 v[4:5], v[6:7], v[8:9]
	global_store_b128 v1, v[2:5], s[4:5] scale_offset
	s_endpgm
	.section	.rodata,"a",@progbits
	.p2align	6, 0x0
	.amdhsa_kernel _Z30fast_hadamard_transform_kernelI37fast_hadamard_transform_kernel_traitsILi2ELi4EfEEv18HadamardParamsBase
		.amdhsa_group_segment_fixed_size 0
		.amdhsa_private_segment_fixed_size 0
		.amdhsa_kernarg_size 312
		.amdhsa_user_sgpr_count 2
		.amdhsa_user_sgpr_dispatch_ptr 0
		.amdhsa_user_sgpr_queue_ptr 0
		.amdhsa_user_sgpr_kernarg_segment_ptr 1
		.amdhsa_user_sgpr_dispatch_id 0
		.amdhsa_user_sgpr_kernarg_preload_length 0
		.amdhsa_user_sgpr_kernarg_preload_offset 0
		.amdhsa_user_sgpr_private_segment_size 0
		.amdhsa_wavefront_size32 1
		.amdhsa_uses_dynamic_stack 0
		.amdhsa_enable_private_segment 0
		.amdhsa_system_sgpr_workgroup_id_x 1
		.amdhsa_system_sgpr_workgroup_id_y 0
		.amdhsa_system_sgpr_workgroup_id_z 0
		.amdhsa_system_sgpr_workgroup_info 0
		.amdhsa_system_vgpr_workitem_id 0
		.amdhsa_next_free_vgpr 22
		.amdhsa_next_free_sgpr 15
		.amdhsa_named_barrier_count 0
		.amdhsa_reserve_vcc 1
		.amdhsa_float_round_mode_32 0
		.amdhsa_float_round_mode_16_64 0
		.amdhsa_float_denorm_mode_32 3
		.amdhsa_float_denorm_mode_16_64 3
		.amdhsa_fp16_overflow 0
		.amdhsa_memory_ordered 1
		.amdhsa_forward_progress 1
		.amdhsa_inst_pref_size 7
		.amdhsa_round_robin_scheduling 0
		.amdhsa_exception_fp_ieee_invalid_op 0
		.amdhsa_exception_fp_denorm_src 0
		.amdhsa_exception_fp_ieee_div_zero 0
		.amdhsa_exception_fp_ieee_overflow 0
		.amdhsa_exception_fp_ieee_underflow 0
		.amdhsa_exception_fp_ieee_inexact 0
		.amdhsa_exception_int_div_zero 0
	.end_amdhsa_kernel
	.section	.text._Z30fast_hadamard_transform_kernelI37fast_hadamard_transform_kernel_traitsILi2ELi4EfEEv18HadamardParamsBase,"axG",@progbits,_Z30fast_hadamard_transform_kernelI37fast_hadamard_transform_kernel_traitsILi2ELi4EfEEv18HadamardParamsBase,comdat
.Lfunc_end1:
	.size	_Z30fast_hadamard_transform_kernelI37fast_hadamard_transform_kernel_traitsILi2ELi4EfEEv18HadamardParamsBase, .Lfunc_end1-_Z30fast_hadamard_transform_kernelI37fast_hadamard_transform_kernel_traitsILi2ELi4EfEEv18HadamardParamsBase
                                        ; -- End function
	.set _Z30fast_hadamard_transform_kernelI37fast_hadamard_transform_kernel_traitsILi2ELi4EfEEv18HadamardParamsBase.num_vgpr, 22
	.set _Z30fast_hadamard_transform_kernelI37fast_hadamard_transform_kernel_traitsILi2ELi4EfEEv18HadamardParamsBase.num_agpr, 0
	.set _Z30fast_hadamard_transform_kernelI37fast_hadamard_transform_kernel_traitsILi2ELi4EfEEv18HadamardParamsBase.numbered_sgpr, 15
	.set _Z30fast_hadamard_transform_kernelI37fast_hadamard_transform_kernel_traitsILi2ELi4EfEEv18HadamardParamsBase.num_named_barrier, 0
	.set _Z30fast_hadamard_transform_kernelI37fast_hadamard_transform_kernel_traitsILi2ELi4EfEEv18HadamardParamsBase.private_seg_size, 0
	.set _Z30fast_hadamard_transform_kernelI37fast_hadamard_transform_kernel_traitsILi2ELi4EfEEv18HadamardParamsBase.uses_vcc, 1
	.set _Z30fast_hadamard_transform_kernelI37fast_hadamard_transform_kernel_traitsILi2ELi4EfEEv18HadamardParamsBase.uses_flat_scratch, 0
	.set _Z30fast_hadamard_transform_kernelI37fast_hadamard_transform_kernel_traitsILi2ELi4EfEEv18HadamardParamsBase.has_dyn_sized_stack, 0
	.set _Z30fast_hadamard_transform_kernelI37fast_hadamard_transform_kernel_traitsILi2ELi4EfEEv18HadamardParamsBase.has_recursion, 0
	.set _Z30fast_hadamard_transform_kernelI37fast_hadamard_transform_kernel_traitsILi2ELi4EfEEv18HadamardParamsBase.has_indirect_call, 0
	.section	.AMDGPU.csdata,"",@progbits
; Kernel info:
; codeLenInByte = 780
; TotalNumSgprs: 17
; NumVgprs: 22
; ScratchSize: 0
; MemoryBound: 0
; FloatMode: 240
; IeeeMode: 1
; LDSByteSize: 0 bytes/workgroup (compile time only)
; SGPRBlocks: 0
; VGPRBlocks: 1
; NumSGPRsForWavesPerEU: 17
; NumVGPRsForWavesPerEU: 22
; NamedBarCnt: 0
; Occupancy: 16
; WaveLimiterHint : 0
; COMPUTE_PGM_RSRC2:SCRATCH_EN: 0
; COMPUTE_PGM_RSRC2:USER_SGPR: 2
; COMPUTE_PGM_RSRC2:TRAP_HANDLER: 0
; COMPUTE_PGM_RSRC2:TGID_X_EN: 1
; COMPUTE_PGM_RSRC2:TGID_Y_EN: 0
; COMPUTE_PGM_RSRC2:TGID_Z_EN: 0
; COMPUTE_PGM_RSRC2:TIDIG_COMP_CNT: 0
	.section	.text._Z30fast_hadamard_transform_kernelI37fast_hadamard_transform_kernel_traitsILi4ELi5EfEEv18HadamardParamsBase,"axG",@progbits,_Z30fast_hadamard_transform_kernelI37fast_hadamard_transform_kernel_traitsILi4ELi5EfEEv18HadamardParamsBase,comdat
	.protected	_Z30fast_hadamard_transform_kernelI37fast_hadamard_transform_kernel_traitsILi4ELi5EfEEv18HadamardParamsBase ; -- Begin function _Z30fast_hadamard_transform_kernelI37fast_hadamard_transform_kernel_traitsILi4ELi5EfEEv18HadamardParamsBase
	.globl	_Z30fast_hadamard_transform_kernelI37fast_hadamard_transform_kernel_traitsILi4ELi5EfEEv18HadamardParamsBase
	.p2align	8
	.type	_Z30fast_hadamard_transform_kernelI37fast_hadamard_transform_kernel_traitsILi4ELi5EfEEv18HadamardParamsBase,@function
_Z30fast_hadamard_transform_kernelI37fast_hadamard_transform_kernel_traitsILi4ELi5EfEEv18HadamardParamsBase: ; @_Z30fast_hadamard_transform_kernelI37fast_hadamard_transform_kernel_traitsILi4ELi5EfEEv18HadamardParamsBase
; %bb.0:
	s_clause 0x3
	s_load_b128 s[4:7], s[0:1], 0x10
	s_load_b32 s14, s[0:1], 0x4
	s_load_b128 s[8:11], s[0:1], 0x28
	s_load_b32 s15, s[0:1], 0x44
	s_bfe_u32 s3, ttmp6, 0x4000c
	s_and_b32 s2, ttmp6, 15
	s_add_co_i32 s3, s3, 1
	s_getreg_b32 s12, hwreg(HW_REG_IB_STS2, 6, 4)
	s_mul_i32 s3, ttmp9, s3
	v_dual_mov_b32 v10, 0 :: v_dual_lshlrev_b32 v1, 2, v0
	s_add_co_i32 s2, s2, s3
	s_cmp_eq_u32 s12, 0
	v_dual_mov_b32 v12, 0 :: v_dual_mov_b32 v13, 0
	s_cselect_b32 s12, ttmp9, s2
	v_dual_mov_b32 v4, 0 :: v_dual_mov_b32 v5, 0
	s_ashr_i32 s13, s12, 31
	s_wait_kmcnt 0x0
	s_mul_u64 s[2:3], s[4:5], s[12:13]
	v_cmp_gt_u32_e32 vcc_lo, s14, v1
	s_lshl_b64 s[2:3], s[2:3], 2
	s_delay_alu instid0(SALU_CYCLE_1)
	s_add_nc_u64 s[2:3], s[8:9], s[2:3]
	s_and_saveexec_b32 s4, vcc_lo
	s_cbranch_execz .LBB2_2
; %bb.1:
	global_load_b128 v[2:5], v0, s[2:3] scale_offset
	s_wait_loadcnt 0x0
	v_dual_mov_b32 v12, v2 :: v_dual_mov_b32 v13, v4
	v_mov_b32_e32 v4, v3
.LBB2_2:
	s_or_b32 exec_lo, exec_lo, s4
	s_load_b32 s4, s[0:1], 0x20
	s_wait_xcnt 0x0
	s_and_b32 s0, 0xffff, s15
	s_delay_alu instid0(SALU_CYCLE_1) | instskip(SKIP_1) | instid1(VALU_DEP_2)
	v_dual_mov_b32 v11, 0 :: v_dual_add_nc_u32 v1, s0, v0
	v_dual_mov_b32 v9, 0 :: v_dual_mov_b32 v8, 0
	v_lshlrev_b32_e32 v2, 2, v1
	s_delay_alu instid0(VALU_DEP_1)
	v_cmp_gt_u32_e64 s0, s14, v2
	s_and_saveexec_b32 s1, s0
	s_cbranch_execz .LBB2_4
; %bb.3:
	global_load_b128 v[6:9], v1, s[2:3] scale_offset
	s_wait_loadcnt 0x0
	v_dual_mov_b32 v10, v6 :: v_dual_mov_b32 v11, v8
	v_mov_b32_e32 v8, v7
.LBB2_4:
	s_or_b32 exec_lo, exec_lo, s1
	v_mbcnt_lo_u32_b32 v20, -1, 0
	v_pk_add_f32 v[2:3], v[12:13], v[4:5]
	v_pk_add_f32 v[4:5], v[12:13], v[4:5] neg_lo:[0,1] neg_hi:[0,1]
	s_wait_kmcnt 0x0
	s_mov_b32 s5, s4
	v_and_b32_e32 v21, 1, v0
	v_dual_mov_b32 v6, v2 :: v_dual_bitop2_b32 v14, 1, v20 bitop3:0x14
	v_dual_mov_b32 v7, v5 :: v_dual_mov_b32 v12, v3
	v_mov_b32_e32 v13, v4
	s_delay_alu instid0(VALU_DEP_3) | instskip(SKIP_1) | instid1(VALU_DEP_3)
	v_cmp_gt_i32_e64 s1, 32, v14
	v_dual_mov_b32 v18, v2 :: v_dual_mov_b32 v19, v4
	v_pk_add_f32 v[6:7], v[6:7], v[12:13]
	s_delay_alu instid0(VALU_DEP_3) | instskip(SKIP_4) | instid1(VALU_DEP_4)
	v_cndmask_b32_e64 v16, v20, v14, s1
	v_pk_add_f32 v[14:15], v[10:11], v[8:9]
	v_pk_add_f32 v[8:9], v[10:11], v[8:9] neg_lo:[0,1] neg_hi:[0,1]
	v_mov_b32_e32 v4, v3
	v_cmp_eq_u32_e64 s1, 0, v21
	v_dual_mov_b32 v10, v14 :: v_dual_lshlrev_b32 v22, 2, v16
	s_delay_alu instid0(VALU_DEP_4) | instskip(SKIP_3) | instid1(VALU_DEP_3)
	v_dual_mov_b32 v11, v9 :: v_dual_mov_b32 v12, v15
	v_dual_mov_b32 v13, v8 :: v_dual_mov_b32 v2, v14
	;; [unrolled: 1-line block ×3, first 2 shown]
	v_pk_add_f32 v[4:5], v[18:19], v[4:5] neg_lo:[0,1] neg_hi:[0,1]
	v_pk_add_f32 v[10:11], v[10:11], v[12:13]
	ds_bpermute_b32 v16, v22, v6
	ds_bpermute_b32 v17, v22, v7
	v_pk_add_f32 v[2:3], v[2:3], v[8:9] neg_lo:[0,1] neg_hi:[0,1]
	v_dual_cndmask_b32 v7, -v7, v7, s1 :: v_dual_bitop2_b32 v18, 2, v20 bitop3:0x14
	ds_bpermute_b32 v8, v22, v10
	ds_bpermute_b32 v9, v22, v11
	;; [unrolled: 1-line block ×6, first 2 shown]
	v_cmp_gt_i32_e64 s2, 32, v18
	v_dual_cndmask_b32 v6, -v6, v6, s1 :: v_dual_cndmask_b32 v11, -v11, v11, s1
	v_dual_cndmask_b32 v10, -v10, v10, s1 :: v_dual_bitop2_b32 v19, 2, v0 bitop3:0x40
	v_cndmask_b32_e64 v4, -v4, v4, s1
	s_delay_alu instid0(VALU_DEP_4) | instskip(SKIP_3) | instid1(VALU_DEP_3)
	v_dual_cndmask_b32 v18, v20, v18, s2 :: v_dual_cndmask_b32 v5, -v5, v5, s1
	v_dual_cndmask_b32 v3, -v3, v3, s1 :: v_dual_cndmask_b32 v2, -v2, v2, s1
	s_wait_dscnt 0x6
	v_pk_add_f32 v[6:7], v[6:7], v[16:17]
	v_lshlrev_b32_e32 v18, 2, v18
	v_cmp_eq_u32_e64 s1, 0, v19
	s_mul_u64 s[2:3], s[6:7], s[12:13]
	s_wait_dscnt 0x4
	v_pk_add_f32 v[8:9], v[10:11], v[8:9]
	ds_bpermute_b32 v10, v18, v6
	s_wait_dscnt 0x3
	v_pk_add_f32 v[4:5], v[4:5], v[12:13]
	ds_bpermute_b32 v11, v18, v7
	;; [unrolled: 3-line block ×3, first 2 shown]
	ds_bpermute_b32 v13, v18, v9
	ds_bpermute_b32 v14, v18, v4
	;; [unrolled: 1-line block ×5, first 2 shown]
	v_dual_cndmask_b32 v7, -v7, v7, s1 :: v_dual_cndmask_b32 v6, -v6, v6, s1
	v_dual_cndmask_b32 v9, -v9, v9, s1 :: v_dual_cndmask_b32 v8, -v8, v8, s1
	;; [unrolled: 1-line block ×4, first 2 shown]
	s_lshl_b64 s[2:3], s[2:3], 2
	s_delay_alu instid0(SALU_CYCLE_1)
	s_add_nc_u64 s[2:3], s[10:11], s[2:3]
	s_wait_dscnt 0x6
	v_pk_add_f32 v[4:5], v[6:7], v[10:11]
	s_wait_dscnt 0x4
	v_pk_add_f32 v[6:7], v[8:9], v[12:13]
	;; [unrolled: 2-line block ×4, first 2 shown]
	s_and_saveexec_b32 s1, vcc_lo
	s_cbranch_execnz .LBB2_7
; %bb.5:
	s_or_b32 exec_lo, exec_lo, s1
	s_and_saveexec_b32 s1, s0
	s_cbranch_execnz .LBB2_8
.LBB2_6:
	s_endpgm
.LBB2_7:
	v_mov_b64_e32 v[12:13], s[4:5]
	v_pk_add_f32 v[10:11], v[4:5], v[6:7]
	v_pk_add_f32 v[14:15], v[2:3], v[8:9]
	s_delay_alu instid0(VALU_DEP_2) | instskip(NEXT) | instid1(VALU_DEP_2)
	v_pk_mul_f32 v[10:11], v[12:13], v[10:11]
	v_pk_mul_f32 v[12:13], v[12:13], v[14:15]
	global_store_b128 v0, v[10:13], s[2:3] scale_offset
	s_wait_xcnt 0x0
	s_or_b32 exec_lo, exec_lo, s1
	s_and_saveexec_b32 s1, s0
	s_cbranch_execz .LBB2_6
.LBB2_8:
	v_pk_add_f32 v[4:5], v[4:5], v[6:7] neg_lo:[0,1] neg_hi:[0,1]
	v_mov_b64_e32 v[6:7], s[4:5]
	v_pk_add_f32 v[8:9], v[2:3], v[8:9] neg_lo:[0,1] neg_hi:[0,1]
	s_delay_alu instid0(VALU_DEP_2) | instskip(NEXT) | instid1(VALU_DEP_2)
	v_pk_mul_f32 v[2:3], v[6:7], v[4:5]
	v_pk_mul_f32 v[4:5], v[6:7], v[8:9]
	global_store_b128 v1, v[2:5], s[2:3] scale_offset
	s_endpgm
	.section	.rodata,"a",@progbits
	.p2align	6, 0x0
	.amdhsa_kernel _Z30fast_hadamard_transform_kernelI37fast_hadamard_transform_kernel_traitsILi4ELi5EfEEv18HadamardParamsBase
		.amdhsa_group_segment_fixed_size 0
		.amdhsa_private_segment_fixed_size 0
		.amdhsa_kernarg_size 312
		.amdhsa_user_sgpr_count 2
		.amdhsa_user_sgpr_dispatch_ptr 0
		.amdhsa_user_sgpr_queue_ptr 0
		.amdhsa_user_sgpr_kernarg_segment_ptr 1
		.amdhsa_user_sgpr_dispatch_id 0
		.amdhsa_user_sgpr_kernarg_preload_length 0
		.amdhsa_user_sgpr_kernarg_preload_offset 0
		.amdhsa_user_sgpr_private_segment_size 0
		.amdhsa_wavefront_size32 1
		.amdhsa_uses_dynamic_stack 0
		.amdhsa_enable_private_segment 0
		.amdhsa_system_sgpr_workgroup_id_x 1
		.amdhsa_system_sgpr_workgroup_id_y 0
		.amdhsa_system_sgpr_workgroup_id_z 0
		.amdhsa_system_sgpr_workgroup_info 0
		.amdhsa_system_vgpr_workitem_id 0
		.amdhsa_next_free_vgpr 23
		.amdhsa_next_free_sgpr 16
		.amdhsa_named_barrier_count 0
		.amdhsa_reserve_vcc 1
		.amdhsa_float_round_mode_32 0
		.amdhsa_float_round_mode_16_64 0
		.amdhsa_float_denorm_mode_32 3
		.amdhsa_float_denorm_mode_16_64 3
		.amdhsa_fp16_overflow 0
		.amdhsa_memory_ordered 1
		.amdhsa_forward_progress 1
		.amdhsa_inst_pref_size 8
		.amdhsa_round_robin_scheduling 0
		.amdhsa_exception_fp_ieee_invalid_op 0
		.amdhsa_exception_fp_denorm_src 0
		.amdhsa_exception_fp_ieee_div_zero 0
		.amdhsa_exception_fp_ieee_overflow 0
		.amdhsa_exception_fp_ieee_underflow 0
		.amdhsa_exception_fp_ieee_inexact 0
		.amdhsa_exception_int_div_zero 0
	.end_amdhsa_kernel
	.section	.text._Z30fast_hadamard_transform_kernelI37fast_hadamard_transform_kernel_traitsILi4ELi5EfEEv18HadamardParamsBase,"axG",@progbits,_Z30fast_hadamard_transform_kernelI37fast_hadamard_transform_kernel_traitsILi4ELi5EfEEv18HadamardParamsBase,comdat
.Lfunc_end2:
	.size	_Z30fast_hadamard_transform_kernelI37fast_hadamard_transform_kernel_traitsILi4ELi5EfEEv18HadamardParamsBase, .Lfunc_end2-_Z30fast_hadamard_transform_kernelI37fast_hadamard_transform_kernel_traitsILi4ELi5EfEEv18HadamardParamsBase
                                        ; -- End function
	.set _Z30fast_hadamard_transform_kernelI37fast_hadamard_transform_kernel_traitsILi4ELi5EfEEv18HadamardParamsBase.num_vgpr, 23
	.set _Z30fast_hadamard_transform_kernelI37fast_hadamard_transform_kernel_traitsILi4ELi5EfEEv18HadamardParamsBase.num_agpr, 0
	.set _Z30fast_hadamard_transform_kernelI37fast_hadamard_transform_kernel_traitsILi4ELi5EfEEv18HadamardParamsBase.numbered_sgpr, 16
	.set _Z30fast_hadamard_transform_kernelI37fast_hadamard_transform_kernel_traitsILi4ELi5EfEEv18HadamardParamsBase.num_named_barrier, 0
	.set _Z30fast_hadamard_transform_kernelI37fast_hadamard_transform_kernel_traitsILi4ELi5EfEEv18HadamardParamsBase.private_seg_size, 0
	.set _Z30fast_hadamard_transform_kernelI37fast_hadamard_transform_kernel_traitsILi4ELi5EfEEv18HadamardParamsBase.uses_vcc, 1
	.set _Z30fast_hadamard_transform_kernelI37fast_hadamard_transform_kernel_traitsILi4ELi5EfEEv18HadamardParamsBase.uses_flat_scratch, 0
	.set _Z30fast_hadamard_transform_kernelI37fast_hadamard_transform_kernel_traitsILi4ELi5EfEEv18HadamardParamsBase.has_dyn_sized_stack, 0
	.set _Z30fast_hadamard_transform_kernelI37fast_hadamard_transform_kernel_traitsILi4ELi5EfEEv18HadamardParamsBase.has_recursion, 0
	.set _Z30fast_hadamard_transform_kernelI37fast_hadamard_transform_kernel_traitsILi4ELi5EfEEv18HadamardParamsBase.has_indirect_call, 0
	.section	.AMDGPU.csdata,"",@progbits
; Kernel info:
; codeLenInByte = 984
; TotalNumSgprs: 18
; NumVgprs: 23
; ScratchSize: 0
; MemoryBound: 0
; FloatMode: 240
; IeeeMode: 1
; LDSByteSize: 0 bytes/workgroup (compile time only)
; SGPRBlocks: 0
; VGPRBlocks: 1
; NumSGPRsForWavesPerEU: 18
; NumVGPRsForWavesPerEU: 23
; NamedBarCnt: 0
; Occupancy: 16
; WaveLimiterHint : 0
; COMPUTE_PGM_RSRC2:SCRATCH_EN: 0
; COMPUTE_PGM_RSRC2:USER_SGPR: 2
; COMPUTE_PGM_RSRC2:TRAP_HANDLER: 0
; COMPUTE_PGM_RSRC2:TGID_X_EN: 1
; COMPUTE_PGM_RSRC2:TGID_Y_EN: 0
; COMPUTE_PGM_RSRC2:TGID_Z_EN: 0
; COMPUTE_PGM_RSRC2:TIDIG_COMP_CNT: 0
	.section	.text._Z30fast_hadamard_transform_kernelI37fast_hadamard_transform_kernel_traitsILi8ELi6EfEEv18HadamardParamsBase,"axG",@progbits,_Z30fast_hadamard_transform_kernelI37fast_hadamard_transform_kernel_traitsILi8ELi6EfEEv18HadamardParamsBase,comdat
	.protected	_Z30fast_hadamard_transform_kernelI37fast_hadamard_transform_kernel_traitsILi8ELi6EfEEv18HadamardParamsBase ; -- Begin function _Z30fast_hadamard_transform_kernelI37fast_hadamard_transform_kernel_traitsILi8ELi6EfEEv18HadamardParamsBase
	.globl	_Z30fast_hadamard_transform_kernelI37fast_hadamard_transform_kernel_traitsILi8ELi6EfEEv18HadamardParamsBase
	.p2align	8
	.type	_Z30fast_hadamard_transform_kernelI37fast_hadamard_transform_kernel_traitsILi8ELi6EfEEv18HadamardParamsBase,@function
_Z30fast_hadamard_transform_kernelI37fast_hadamard_transform_kernel_traitsILi8ELi6EfEEv18HadamardParamsBase: ; @_Z30fast_hadamard_transform_kernelI37fast_hadamard_transform_kernel_traitsILi8ELi6EfEEv18HadamardParamsBase
; %bb.0:
	s_clause 0x3
	s_load_b128 s[4:7], s[0:1], 0x10
	s_load_b32 s14, s[0:1], 0x4
	s_load_b128 s[8:11], s[0:1], 0x28
	s_load_b32 s15, s[0:1], 0x44
	s_bfe_u32 s3, ttmp6, 0x4000c
	s_and_b32 s2, ttmp6, 15
	s_add_co_i32 s3, s3, 1
	s_getreg_b32 s12, hwreg(HW_REG_IB_STS2, 6, 4)
	s_mul_i32 s3, ttmp9, s3
	v_dual_mov_b32 v10, 0 :: v_dual_lshlrev_b32 v1, 2, v0
	s_add_co_i32 s2, s2, s3
	s_cmp_eq_u32 s12, 0
	v_dual_mov_b32 v12, 0 :: v_dual_mov_b32 v13, 0
	s_cselect_b32 s12, ttmp9, s2
	v_dual_mov_b32 v4, 0 :: v_dual_mov_b32 v5, 0
	s_ashr_i32 s13, s12, 31
	s_wait_kmcnt 0x0
	s_mul_u64 s[2:3], s[4:5], s[12:13]
	v_cmp_gt_u32_e32 vcc_lo, s14, v1
	s_lshl_b64 s[2:3], s[2:3], 2
	s_delay_alu instid0(SALU_CYCLE_1)
	s_add_nc_u64 s[2:3], s[8:9], s[2:3]
	s_and_saveexec_b32 s4, vcc_lo
	s_cbranch_execz .LBB3_2
; %bb.1:
	global_load_b128 v[2:5], v0, s[2:3] scale_offset
	s_wait_loadcnt 0x0
	v_dual_mov_b32 v12, v2 :: v_dual_mov_b32 v13, v4
	v_mov_b32_e32 v4, v3
.LBB3_2:
	s_or_b32 exec_lo, exec_lo, s4
	s_load_b32 s4, s[0:1], 0x20
	s_wait_xcnt 0x0
	s_and_b32 s0, 0xffff, s15
	s_delay_alu instid0(SALU_CYCLE_1) | instskip(SKIP_1) | instid1(VALU_DEP_2)
	v_dual_mov_b32 v11, 0 :: v_dual_add_nc_u32 v1, s0, v0
	v_dual_mov_b32 v9, 0 :: v_dual_mov_b32 v8, 0
	v_lshlrev_b32_e32 v2, 2, v1
	s_delay_alu instid0(VALU_DEP_1)
	v_cmp_gt_u32_e64 s0, s14, v2
	s_and_saveexec_b32 s1, s0
	s_cbranch_execz .LBB3_4
; %bb.3:
	global_load_b128 v[6:9], v1, s[2:3] scale_offset
	s_wait_loadcnt 0x0
	v_dual_mov_b32 v10, v6 :: v_dual_mov_b32 v11, v8
	v_mov_b32_e32 v8, v7
.LBB3_4:
	s_or_b32 exec_lo, exec_lo, s1
	v_mbcnt_lo_u32_b32 v20, -1, 0
	v_pk_add_f32 v[2:3], v[12:13], v[4:5]
	s_delay_alu instid0(VALU_DEP_3) | instskip(SKIP_2) | instid1(VALU_DEP_4)
	v_pk_add_f32 v[6:7], v[10:11], v[8:9]
	v_pk_add_f32 v[8:9], v[10:11], v[8:9] neg_lo:[0,1] neg_hi:[0,1]
	v_pk_add_f32 v[4:5], v[12:13], v[4:5] neg_lo:[0,1] neg_hi:[0,1]
	v_dual_mov_b32 v14, v3 :: v_dual_bitop2_b32 v16, 1, v20 bitop3:0x14
	s_delay_alu instid0(VALU_DEP_4) | instskip(NEXT) | instid1(VALU_DEP_3)
	v_dual_mov_b32 v12, v2 :: v_dual_mov_b32 v10, v6
	v_mov_b32_e32 v15, v4
	s_delay_alu instid0(VALU_DEP_3)
	v_cmp_gt_i32_e64 s1, 32, v16
	v_mov_b32_e32 v13, v5
	s_wait_kmcnt 0x0
	s_mov_b32 s5, s4
	v_dual_mov_b32 v11, v9 :: v_dual_bitop2_b32 v18, 1, v0 bitop3:0x40
	v_cndmask_b32_e64 v17, v20, v16, s1
	v_dual_mov_b32 v16, v7 :: v_dual_bitop2_b32 v19, 2, v20 bitop3:0x14
	v_pk_add_f32 v[12:13], v[12:13], v[14:15]
	s_delay_alu instid0(VALU_DEP_4) | instskip(NEXT) | instid1(VALU_DEP_4)
	v_cmp_eq_u32_e64 s1, 0, v18
	v_lshlrev_b32_e32 v21, 2, v17
	s_delay_alu instid0(VALU_DEP_4)
	v_cmp_gt_i32_e64 s2, 32, v19
	v_dual_mov_b32 v17, v8 :: v_dual_mov_b32 v18, v2
	v_mov_b32_e32 v2, v6
	ds_bpermute_b32 v14, v21, v12
	v_cndmask_b32_e64 v22, v20, v19, s2
	v_dual_mov_b32 v19, v4 :: v_dual_mov_b32 v4, v3
	v_dual_mov_b32 v3, v8 :: v_dual_mov_b32 v8, v7
	v_pk_add_f32 v[6:7], v[10:11], v[16:17]
	ds_bpermute_b32 v15, v21, v13
	v_pk_add_f32 v[4:5], v[18:19], v[4:5] neg_lo:[0,1] neg_hi:[0,1]
	v_dual_cndmask_b32 v11, -v13, v13, s1 :: v_dual_cndmask_b32 v10, -v12, v12, s1
	v_pk_add_f32 v[2:3], v[2:3], v[8:9] neg_lo:[0,1] neg_hi:[0,1]
	ds_bpermute_b32 v8, v21, v6
	ds_bpermute_b32 v9, v21, v7
	;; [unrolled: 1-line block ×6, first 2 shown]
	v_dual_cndmask_b32 v7, -v7, v7, s1 :: v_dual_cndmask_b32 v6, -v6, v6, s1
	v_dual_cndmask_b32 v5, -v5, v5, s1 :: v_dual_cndmask_b32 v4, -v4, v4, s1
	;; [unrolled: 1-line block ×3, first 2 shown]
	v_dual_lshlrev_b32 v18, 2, v22 :: v_dual_bitop2_b32 v19, 2, v0 bitop3:0x40
	s_wait_dscnt 0x6
	v_pk_add_f32 v[10:11], v[10:11], v[14:15]
	s_delay_alu instid0(VALU_DEP_2)
	v_cmp_eq_u32_e64 s1, 0, v19
	v_xor_b32_e32 v19, 4, v20
	ds_bpermute_b32 v14, v18, v10
	s_wait_dscnt 0x5
	v_pk_add_f32 v[6:7], v[6:7], v[8:9]
	ds_bpermute_b32 v15, v18, v11
	s_wait_dscnt 0x4
	v_pk_add_f32 v[4:5], v[4:5], v[12:13]
	v_cndmask_b32_e64 v11, -v11, v11, s1
	s_wait_dscnt 0x2
	v_pk_add_f32 v[2:3], v[2:3], v[16:17]
	ds_bpermute_b32 v8, v18, v6
	ds_bpermute_b32 v9, v18, v7
	;; [unrolled: 1-line block ×6, first 2 shown]
	v_cmp_gt_i32_e64 s2, 32, v19
	v_dual_cndmask_b32 v10, -v10, v10, s1 :: v_dual_cndmask_b32 v7, -v7, v7, s1
	v_dual_cndmask_b32 v6, -v6, v6, s1 :: v_dual_cndmask_b32 v5, -v5, v5, s1
	v_cndmask_b32_e64 v4, -v4, v4, s1
	s_delay_alu instid0(VALU_DEP_4)
	v_cndmask_b32_e64 v18, v20, v19, s2
	v_dual_cndmask_b32 v3, -v3, v3, s1 :: v_dual_cndmask_b32 v2, -v2, v2, s1
	v_and_b32_e32 v19, 4, v0
	s_wait_dscnt 0x6
	v_pk_add_f32 v[10:11], v[10:11], v[14:15]
	v_lshlrev_b32_e32 v18, 2, v18
	s_mul_u64 s[2:3], s[6:7], s[12:13]
	v_cmp_eq_u32_e64 s1, 0, v19
	s_wait_dscnt 0x4
	v_pk_add_f32 v[6:7], v[6:7], v[8:9]
	ds_bpermute_b32 v8, v18, v10
	s_wait_dscnt 0x3
	v_pk_add_f32 v[4:5], v[4:5], v[12:13]
	ds_bpermute_b32 v9, v18, v11
	;; [unrolled: 3-line block ×3, first 2 shown]
	ds_bpermute_b32 v13, v18, v7
	ds_bpermute_b32 v14, v18, v4
	;; [unrolled: 1-line block ×5, first 2 shown]
	v_dual_cndmask_b32 v11, -v11, v11, s1 :: v_dual_cndmask_b32 v10, -v10, v10, s1
	v_dual_cndmask_b32 v7, -v7, v7, s1 :: v_dual_cndmask_b32 v6, -v6, v6, s1
	;; [unrolled: 1-line block ×4, first 2 shown]
	s_lshl_b64 s[2:3], s[2:3], 2
	s_delay_alu instid0(SALU_CYCLE_1)
	s_add_nc_u64 s[2:3], s[10:11], s[2:3]
	s_wait_dscnt 0x6
	v_pk_add_f32 v[4:5], v[10:11], v[8:9]
	s_wait_dscnt 0x4
	v_pk_add_f32 v[6:7], v[6:7], v[12:13]
	;; [unrolled: 2-line block ×4, first 2 shown]
	s_and_saveexec_b32 s1, vcc_lo
	s_cbranch_execnz .LBB3_7
; %bb.5:
	s_or_b32 exec_lo, exec_lo, s1
	s_and_saveexec_b32 s1, s0
	s_cbranch_execnz .LBB3_8
.LBB3_6:
	s_endpgm
.LBB3_7:
	v_mov_b64_e32 v[12:13], s[4:5]
	v_pk_add_f32 v[10:11], v[4:5], v[6:7]
	v_pk_add_f32 v[14:15], v[2:3], v[8:9]
	s_delay_alu instid0(VALU_DEP_2) | instskip(NEXT) | instid1(VALU_DEP_2)
	v_pk_mul_f32 v[10:11], v[12:13], v[10:11]
	v_pk_mul_f32 v[12:13], v[12:13], v[14:15]
	global_store_b128 v0, v[10:13], s[2:3] scale_offset
	s_wait_xcnt 0x0
	s_or_b32 exec_lo, exec_lo, s1
	s_and_saveexec_b32 s1, s0
	s_cbranch_execz .LBB3_6
.LBB3_8:
	v_pk_add_f32 v[4:5], v[4:5], v[6:7] neg_lo:[0,1] neg_hi:[0,1]
	v_mov_b64_e32 v[6:7], s[4:5]
	v_pk_add_f32 v[8:9], v[2:3], v[8:9] neg_lo:[0,1] neg_hi:[0,1]
	s_delay_alu instid0(VALU_DEP_2) | instskip(NEXT) | instid1(VALU_DEP_2)
	v_pk_mul_f32 v[2:3], v[6:7], v[4:5]
	v_pk_mul_f32 v[4:5], v[6:7], v[8:9]
	global_store_b128 v1, v[2:5], s[2:3] scale_offset
	s_endpgm
	.section	.rodata,"a",@progbits
	.p2align	6, 0x0
	.amdhsa_kernel _Z30fast_hadamard_transform_kernelI37fast_hadamard_transform_kernel_traitsILi8ELi6EfEEv18HadamardParamsBase
		.amdhsa_group_segment_fixed_size 0
		.amdhsa_private_segment_fixed_size 0
		.amdhsa_kernarg_size 312
		.amdhsa_user_sgpr_count 2
		.amdhsa_user_sgpr_dispatch_ptr 0
		.amdhsa_user_sgpr_queue_ptr 0
		.amdhsa_user_sgpr_kernarg_segment_ptr 1
		.amdhsa_user_sgpr_dispatch_id 0
		.amdhsa_user_sgpr_kernarg_preload_length 0
		.amdhsa_user_sgpr_kernarg_preload_offset 0
		.amdhsa_user_sgpr_private_segment_size 0
		.amdhsa_wavefront_size32 1
		.amdhsa_uses_dynamic_stack 0
		.amdhsa_enable_private_segment 0
		.amdhsa_system_sgpr_workgroup_id_x 1
		.amdhsa_system_sgpr_workgroup_id_y 0
		.amdhsa_system_sgpr_workgroup_id_z 0
		.amdhsa_system_sgpr_workgroup_info 0
		.amdhsa_system_vgpr_workitem_id 0
		.amdhsa_next_free_vgpr 23
		.amdhsa_next_free_sgpr 16
		.amdhsa_named_barrier_count 0
		.amdhsa_reserve_vcc 1
		.amdhsa_float_round_mode_32 0
		.amdhsa_float_round_mode_16_64 0
		.amdhsa_float_denorm_mode_32 3
		.amdhsa_float_denorm_mode_16_64 3
		.amdhsa_fp16_overflow 0
		.amdhsa_memory_ordered 1
		.amdhsa_forward_progress 1
		.amdhsa_inst_pref_size 10
		.amdhsa_round_robin_scheduling 0
		.amdhsa_exception_fp_ieee_invalid_op 0
		.amdhsa_exception_fp_denorm_src 0
		.amdhsa_exception_fp_ieee_div_zero 0
		.amdhsa_exception_fp_ieee_overflow 0
		.amdhsa_exception_fp_ieee_underflow 0
		.amdhsa_exception_fp_ieee_inexact 0
		.amdhsa_exception_int_div_zero 0
	.end_amdhsa_kernel
	.section	.text._Z30fast_hadamard_transform_kernelI37fast_hadamard_transform_kernel_traitsILi8ELi6EfEEv18HadamardParamsBase,"axG",@progbits,_Z30fast_hadamard_transform_kernelI37fast_hadamard_transform_kernel_traitsILi8ELi6EfEEv18HadamardParamsBase,comdat
.Lfunc_end3:
	.size	_Z30fast_hadamard_transform_kernelI37fast_hadamard_transform_kernel_traitsILi8ELi6EfEEv18HadamardParamsBase, .Lfunc_end3-_Z30fast_hadamard_transform_kernelI37fast_hadamard_transform_kernel_traitsILi8ELi6EfEEv18HadamardParamsBase
                                        ; -- End function
	.set _Z30fast_hadamard_transform_kernelI37fast_hadamard_transform_kernel_traitsILi8ELi6EfEEv18HadamardParamsBase.num_vgpr, 23
	.set _Z30fast_hadamard_transform_kernelI37fast_hadamard_transform_kernel_traitsILi8ELi6EfEEv18HadamardParamsBase.num_agpr, 0
	.set _Z30fast_hadamard_transform_kernelI37fast_hadamard_transform_kernel_traitsILi8ELi6EfEEv18HadamardParamsBase.numbered_sgpr, 16
	.set _Z30fast_hadamard_transform_kernelI37fast_hadamard_transform_kernel_traitsILi8ELi6EfEEv18HadamardParamsBase.num_named_barrier, 0
	.set _Z30fast_hadamard_transform_kernelI37fast_hadamard_transform_kernel_traitsILi8ELi6EfEEv18HadamardParamsBase.private_seg_size, 0
	.set _Z30fast_hadamard_transform_kernelI37fast_hadamard_transform_kernel_traitsILi8ELi6EfEEv18HadamardParamsBase.uses_vcc, 1
	.set _Z30fast_hadamard_transform_kernelI37fast_hadamard_transform_kernel_traitsILi8ELi6EfEEv18HadamardParamsBase.uses_flat_scratch, 0
	.set _Z30fast_hadamard_transform_kernelI37fast_hadamard_transform_kernel_traitsILi8ELi6EfEEv18HadamardParamsBase.has_dyn_sized_stack, 0
	.set _Z30fast_hadamard_transform_kernelI37fast_hadamard_transform_kernel_traitsILi8ELi6EfEEv18HadamardParamsBase.has_recursion, 0
	.set _Z30fast_hadamard_transform_kernelI37fast_hadamard_transform_kernel_traitsILi8ELi6EfEEv18HadamardParamsBase.has_indirect_call, 0
	.section	.AMDGPU.csdata,"",@progbits
; Kernel info:
; codeLenInByte = 1204
; TotalNumSgprs: 18
; NumVgprs: 23
; ScratchSize: 0
; MemoryBound: 0
; FloatMode: 240
; IeeeMode: 1
; LDSByteSize: 0 bytes/workgroup (compile time only)
; SGPRBlocks: 0
; VGPRBlocks: 1
; NumSGPRsForWavesPerEU: 18
; NumVGPRsForWavesPerEU: 23
; NamedBarCnt: 0
; Occupancy: 16
; WaveLimiterHint : 0
; COMPUTE_PGM_RSRC2:SCRATCH_EN: 0
; COMPUTE_PGM_RSRC2:USER_SGPR: 2
; COMPUTE_PGM_RSRC2:TRAP_HANDLER: 0
; COMPUTE_PGM_RSRC2:TGID_X_EN: 1
; COMPUTE_PGM_RSRC2:TGID_Y_EN: 0
; COMPUTE_PGM_RSRC2:TGID_Z_EN: 0
; COMPUTE_PGM_RSRC2:TIDIG_COMP_CNT: 0
	.section	.text._Z30fast_hadamard_transform_kernelI37fast_hadamard_transform_kernel_traitsILi16ELi7EfEEv18HadamardParamsBase,"axG",@progbits,_Z30fast_hadamard_transform_kernelI37fast_hadamard_transform_kernel_traitsILi16ELi7EfEEv18HadamardParamsBase,comdat
	.protected	_Z30fast_hadamard_transform_kernelI37fast_hadamard_transform_kernel_traitsILi16ELi7EfEEv18HadamardParamsBase ; -- Begin function _Z30fast_hadamard_transform_kernelI37fast_hadamard_transform_kernel_traitsILi16ELi7EfEEv18HadamardParamsBase
	.globl	_Z30fast_hadamard_transform_kernelI37fast_hadamard_transform_kernel_traitsILi16ELi7EfEEv18HadamardParamsBase
	.p2align	8
	.type	_Z30fast_hadamard_transform_kernelI37fast_hadamard_transform_kernel_traitsILi16ELi7EfEEv18HadamardParamsBase,@function
_Z30fast_hadamard_transform_kernelI37fast_hadamard_transform_kernel_traitsILi16ELi7EfEEv18HadamardParamsBase: ; @_Z30fast_hadamard_transform_kernelI37fast_hadamard_transform_kernel_traitsILi16ELi7EfEEv18HadamardParamsBase
; %bb.0:
	s_clause 0x3
	s_load_b128 s[4:7], s[0:1], 0x10
	s_load_b32 s14, s[0:1], 0x4
	s_load_b128 s[8:11], s[0:1], 0x28
	s_load_b32 s15, s[0:1], 0x44
	s_bfe_u32 s3, ttmp6, 0x4000c
	s_and_b32 s2, ttmp6, 15
	s_add_co_i32 s3, s3, 1
	s_getreg_b32 s12, hwreg(HW_REG_IB_STS2, 6, 4)
	s_mul_i32 s3, ttmp9, s3
	v_dual_mov_b32 v2, 0 :: v_dual_lshlrev_b32 v1, 2, v0
	s_add_co_i32 s2, s2, s3
	s_cmp_eq_u32 s12, 0
	v_dual_mov_b32 v10, 0 :: v_dual_mov_b32 v11, 0
	s_cselect_b32 s12, ttmp9, s2
	v_dual_mov_b32 v6, 0 :: v_dual_mov_b32 v7, 0
	s_ashr_i32 s13, s12, 31
	s_wait_kmcnt 0x0
	s_mul_u64 s[2:3], s[4:5], s[12:13]
	v_cmp_gt_u32_e32 vcc_lo, s14, v1
	s_lshl_b64 s[2:3], s[2:3], 2
	s_delay_alu instid0(SALU_CYCLE_1)
	s_add_nc_u64 s[2:3], s[8:9], s[2:3]
	s_and_saveexec_b32 s4, vcc_lo
	s_cbranch_execz .LBB4_2
; %bb.1:
	global_load_b128 v[6:9], v0, s[2:3] scale_offset
	s_wait_loadcnt 0x0
	v_dual_mov_b32 v10, v8 :: v_dual_mov_b32 v11, v6
	v_mov_b32_e32 v6, v9
.LBB4_2:
	s_or_b32 exec_lo, exec_lo, s4
	s_load_b32 s4, s[0:1], 0x20
	s_wait_xcnt 0x0
	s_and_b32 s0, 0xffff, s15
	s_delay_alu instid0(SALU_CYCLE_1) | instskip(NEXT) | instid1(VALU_DEP_1)
	v_dual_mov_b32 v5, 0 :: v_dual_add_nc_u32 v1, s0, v0
	v_dual_mov_b32 v4, 0 :: v_dual_lshlrev_b32 v3, 2, v1
	s_delay_alu instid0(VALU_DEP_1)
	v_cmp_gt_u32_e64 s0, s14, v3
	v_mov_b32_e32 v3, 0
	s_and_saveexec_b32 s1, s0
	s_cbranch_execz .LBB4_4
; %bb.3:
	global_load_b128 v[2:5], v1, s[2:3] scale_offset
.LBB4_4:
	s_wait_xcnt 0x0
	s_or_b32 exec_lo, exec_lo, s1
	v_pk_add_f32 v[8:9], v[10:11], v[6:7]
	v_mbcnt_lo_u32_b32 v22, -1, 0
	v_pk_add_f32 v[6:7], v[10:11], v[6:7] neg_lo:[0,1] neg_hi:[0,1]
	s_wait_loadcnt 0x0
	v_dual_mov_b32 v10, v3 :: v_dual_mov_b32 v12, v5
	s_delay_alu instid0(VALU_DEP_3) | instskip(SKIP_1) | instid1(VALU_DEP_3)
	v_dual_mov_b32 v14, v8 :: v_dual_bitop2_b32 v13, 1, v22 bitop3:0x14
	v_dual_mov_b32 v20, v9 :: v_dual_bitop2_b32 v24, 2, v0 bitop3:0x40
	v_pk_add_f32 v[16:17], v[2:3], v[10:11]
	v_pk_add_f32 v[2:3], v[2:3], v[10:11] neg_lo:[0,1] neg_hi:[0,1]
	s_delay_alu instid0(VALU_DEP_4) | instskip(SKIP_3) | instid1(VALU_DEP_4)
	v_cmp_gt_i32_e64 s1, 32, v13
	v_mov_b32_e32 v15, v7
	v_pk_add_f32 v[10:11], v[4:5], v[12:13]
	v_pk_add_f32 v[4:5], v[4:5], v[12:13] neg_lo:[0,1] neg_hi:[0,1]
	v_dual_mov_b32 v12, v9 :: v_dual_cndmask_b32 v3, v22, v13, s1
	v_dual_mov_b32 v13, v6 :: v_dual_bitop2_b32 v5, 1, v0 bitop3:0x40
	s_delay_alu instid0(VALU_DEP_3) | instskip(NEXT) | instid1(VALU_DEP_3)
	v_dual_mov_b32 v17, v4 :: v_dual_mov_b32 v11, v2
	v_lshlrev_b32_e32 v23, 2, v3
	s_delay_alu instid0(VALU_DEP_3) | instskip(SKIP_1) | instid1(VALU_DEP_4)
	v_pk_add_f32 v[12:13], v[12:13], v[14:15]
	v_dual_mov_b32 v21, v7 :: v_dual_bitop2_b32 v3, 2, v22 bitop3:0x14
	v_pk_add_f32 v[14:15], v[16:17], v[10:11]
	v_dual_mov_b32 v9, v6 :: v_dual_mov_b32 v17, v2
	ds_bpermute_b32 v18, v23, v12
	ds_bpermute_b32 v19, v23, v13
	v_cmp_gt_i32_e64 s2, 32, v3
	v_mov_b32_e32 v11, v4
	v_cmp_eq_u32_e64 s1, 0, v5
	v_pk_add_f32 v[4:5], v[20:21], v[8:9] neg_lo:[0,1] neg_hi:[0,1]
	ds_bpermute_b32 v8, v23, v14
	v_cndmask_b32_e64 v25, v22, v3, s2
	v_pk_add_f32 v[6:7], v[16:17], v[10:11] neg_lo:[0,1] neg_hi:[0,1]
	v_dual_cndmask_b32 v3, -v13, v13, s1 :: v_dual_cndmask_b32 v2, -v12, v12, s1
	ds_bpermute_b32 v9, v23, v15
	ds_bpermute_b32 v10, v23, v4
	;; [unrolled: 1-line block ×5, first 2 shown]
	v_xor_b32_e32 v16, 4, v22
	v_cmp_eq_u32_e64 s2, 0, v24
	v_dual_cndmask_b32 v14, -v14, v14, s1 :: v_dual_cndmask_b32 v5, -v5, v5, s1
	v_dual_cndmask_b32 v4, -v4, v4, s1 :: v_dual_cndmask_b32 v7, -v7, v7, s1
	s_wait_dscnt 0x6
	v_pk_add_f32 v[2:3], v[2:3], v[18:19]
	v_lshlrev_b32_e32 v18, 2, v25
	v_cmp_gt_i32_e64 s3, 32, v16
	v_dual_cndmask_b32 v15, -v15, v15, s1 :: v_dual_cndmask_b32 v6, -v6, v6, s1
	s_wait_kmcnt 0x0
	s_mov_b32 s5, s4
	ds_bpermute_b32 v17, v18, v3
	v_cndmask_b32_e64 v19, v22, v16, s3
	ds_bpermute_b32 v16, v18, v2
	s_wait_dscnt 0x6
	v_pk_add_f32 v[8:9], v[14:15], v[8:9]
	v_cndmask_b32_e64 v3, -v3, v3, s2
	s_wait_dscnt 0x4
	v_pk_add_f32 v[4:5], v[4:5], v[10:11]
	v_cndmask_b32_e64 v2, -v2, v2, s2
	s_wait_dscnt 0x2
	v_pk_add_f32 v[6:7], v[6:7], v[12:13]
	ds_bpermute_b32 v10, v18, v8
	ds_bpermute_b32 v11, v18, v9
	;; [unrolled: 1-line block ×6, first 2 shown]
	v_dual_lshlrev_b32 v18, 2, v19 :: v_dual_bitop2_b32 v19, 4, v0 bitop3:0x40
	v_dual_cndmask_b32 v9, -v9, v9, s2 :: v_dual_cndmask_b32 v8, -v8, v8, s2
	v_dual_cndmask_b32 v5, -v5, v5, s2 :: v_dual_cndmask_b32 v4, -v4, v4, s2
	v_cndmask_b32_e64 v7, -v7, v7, s2
	s_delay_alu instid0(VALU_DEP_4)
	v_cmp_eq_u32_e64 s1, 0, v19
	s_wait_dscnt 0x6
	v_pk_add_f32 v[2:3], v[2:3], v[16:17]
	v_cndmask_b32_e64 v6, -v6, v6, s2
	ds_bpermute_b32 v16, v18, v2
	ds_bpermute_b32 v17, v18, v3
	s_wait_dscnt 0x6
	v_pk_add_f32 v[8:9], v[8:9], v[10:11]
	v_cndmask_b32_e64 v3, -v3, v3, s1
	s_wait_dscnt 0x4
	v_pk_add_f32 v[4:5], v[4:5], v[12:13]
	v_xor_b32_e32 v19, 8, v22
	s_wait_dscnt 0x2
	v_pk_add_f32 v[6:7], v[6:7], v[14:15]
	ds_bpermute_b32 v10, v18, v8
	ds_bpermute_b32 v11, v18, v9
	;; [unrolled: 1-line block ×6, first 2 shown]
	v_cndmask_b32_e64 v9, -v9, v9, s1
	v_cmp_gt_i32_e64 s2, 32, v19
	v_dual_cndmask_b32 v2, -v2, v2, s1 :: v_dual_cndmask_b32 v8, -v8, v8, s1
	v_dual_cndmask_b32 v5, -v5, v5, s1 :: v_dual_cndmask_b32 v4, -v4, v4, s1
	v_cndmask_b32_e64 v7, -v7, v7, s1
	s_delay_alu instid0(VALU_DEP_4)
	v_dual_cndmask_b32 v18, v22, v19, s2 :: v_dual_bitop2_b32 v19, 8, v0 bitop3:0x40
	s_wait_dscnt 0x6
	v_pk_add_f32 v[2:3], v[2:3], v[16:17]
	v_cndmask_b32_e64 v6, -v6, v6, s1
	s_mul_u64 s[2:3], s[6:7], s[12:13]
	v_lshlrev_b32_e32 v18, 2, v18
	v_cmp_eq_u32_e64 s1, 0, v19
	s_lshl_b64 s[2:3], s[2:3], 2
	s_wait_dscnt 0x4
	v_pk_add_f32 v[8:9], v[8:9], v[10:11]
	s_add_nc_u64 s[2:3], s[10:11], s[2:3]
	s_wait_dscnt 0x2
	v_pk_add_f32 v[4:5], v[4:5], v[12:13]
	ds_bpermute_b32 v11, v18, v3
	v_cndmask_b32_e64 v3, -v3, v3, s1
	s_wait_dscnt 0x1
	v_pk_add_f32 v[6:7], v[6:7], v[14:15]
	ds_bpermute_b32 v10, v18, v2
	ds_bpermute_b32 v12, v18, v8
	;; [unrolled: 1-line block ×7, first 2 shown]
	v_dual_cndmask_b32 v2, -v2, v2, s1 :: v_dual_cndmask_b32 v9, -v9, v9, s1
	v_dual_cndmask_b32 v8, -v8, v8, s1 :: v_dual_cndmask_b32 v19, -v5, v5, s1
	;; [unrolled: 1-line block ×3, first 2 shown]
	v_cndmask_b32_e64 v20, -v6, v6, s1
	s_wait_dscnt 0x6
	v_pk_add_f32 v[4:5], v[2:3], v[10:11]
	s_wait_dscnt 0x4
	v_pk_add_f32 v[6:7], v[8:9], v[12:13]
	;; [unrolled: 2-line block ×4, first 2 shown]
	s_and_saveexec_b32 s1, vcc_lo
	s_cbranch_execnz .LBB4_7
; %bb.5:
	s_or_b32 exec_lo, exec_lo, s1
	s_and_saveexec_b32 s1, s0
	s_cbranch_execnz .LBB4_8
.LBB4_6:
	s_endpgm
.LBB4_7:
	v_mov_b64_e32 v[12:13], s[4:5]
	v_pk_add_f32 v[10:11], v[4:5], v[6:7]
	v_pk_add_f32 v[14:15], v[2:3], v[8:9]
	s_delay_alu instid0(VALU_DEP_2) | instskip(NEXT) | instid1(VALU_DEP_2)
	v_pk_mul_f32 v[10:11], v[12:13], v[10:11]
	v_pk_mul_f32 v[12:13], v[12:13], v[14:15]
	global_store_b128 v0, v[10:13], s[2:3] scale_offset
	s_wait_xcnt 0x0
	s_or_b32 exec_lo, exec_lo, s1
	s_and_saveexec_b32 s1, s0
	s_cbranch_execz .LBB4_6
.LBB4_8:
	v_pk_add_f32 v[4:5], v[4:5], v[6:7] neg_lo:[0,1] neg_hi:[0,1]
	v_mov_b64_e32 v[6:7], s[4:5]
	v_pk_add_f32 v[8:9], v[2:3], v[8:9] neg_lo:[0,1] neg_hi:[0,1]
	s_delay_alu instid0(VALU_DEP_2) | instskip(NEXT) | instid1(VALU_DEP_2)
	v_pk_mul_f32 v[2:3], v[6:7], v[4:5]
	v_pk_mul_f32 v[4:5], v[6:7], v[8:9]
	global_store_b128 v1, v[2:5], s[2:3] scale_offset
	s_endpgm
	.section	.rodata,"a",@progbits
	.p2align	6, 0x0
	.amdhsa_kernel _Z30fast_hadamard_transform_kernelI37fast_hadamard_transform_kernel_traitsILi16ELi7EfEEv18HadamardParamsBase
		.amdhsa_group_segment_fixed_size 0
		.amdhsa_private_segment_fixed_size 0
		.amdhsa_kernarg_size 312
		.amdhsa_user_sgpr_count 2
		.amdhsa_user_sgpr_dispatch_ptr 0
		.amdhsa_user_sgpr_queue_ptr 0
		.amdhsa_user_sgpr_kernarg_segment_ptr 1
		.amdhsa_user_sgpr_dispatch_id 0
		.amdhsa_user_sgpr_kernarg_preload_length 0
		.amdhsa_user_sgpr_kernarg_preload_offset 0
		.amdhsa_user_sgpr_private_segment_size 0
		.amdhsa_wavefront_size32 1
		.amdhsa_uses_dynamic_stack 0
		.amdhsa_enable_private_segment 0
		.amdhsa_system_sgpr_workgroup_id_x 1
		.amdhsa_system_sgpr_workgroup_id_y 0
		.amdhsa_system_sgpr_workgroup_id_z 0
		.amdhsa_system_sgpr_workgroup_info 0
		.amdhsa_system_vgpr_workitem_id 0
		.amdhsa_next_free_vgpr 26
		.amdhsa_next_free_sgpr 16
		.amdhsa_named_barrier_count 0
		.amdhsa_reserve_vcc 1
		.amdhsa_float_round_mode_32 0
		.amdhsa_float_round_mode_16_64 0
		.amdhsa_float_denorm_mode_32 3
		.amdhsa_float_denorm_mode_16_64 3
		.amdhsa_fp16_overflow 0
		.amdhsa_memory_ordered 1
		.amdhsa_forward_progress 1
		.amdhsa_inst_pref_size 12
		.amdhsa_round_robin_scheduling 0
		.amdhsa_exception_fp_ieee_invalid_op 0
		.amdhsa_exception_fp_denorm_src 0
		.amdhsa_exception_fp_ieee_div_zero 0
		.amdhsa_exception_fp_ieee_overflow 0
		.amdhsa_exception_fp_ieee_underflow 0
		.amdhsa_exception_fp_ieee_inexact 0
		.amdhsa_exception_int_div_zero 0
	.end_amdhsa_kernel
	.section	.text._Z30fast_hadamard_transform_kernelI37fast_hadamard_transform_kernel_traitsILi16ELi7EfEEv18HadamardParamsBase,"axG",@progbits,_Z30fast_hadamard_transform_kernelI37fast_hadamard_transform_kernel_traitsILi16ELi7EfEEv18HadamardParamsBase,comdat
.Lfunc_end4:
	.size	_Z30fast_hadamard_transform_kernelI37fast_hadamard_transform_kernel_traitsILi16ELi7EfEEv18HadamardParamsBase, .Lfunc_end4-_Z30fast_hadamard_transform_kernelI37fast_hadamard_transform_kernel_traitsILi16ELi7EfEEv18HadamardParamsBase
                                        ; -- End function
	.set _Z30fast_hadamard_transform_kernelI37fast_hadamard_transform_kernel_traitsILi16ELi7EfEEv18HadamardParamsBase.num_vgpr, 26
	.set _Z30fast_hadamard_transform_kernelI37fast_hadamard_transform_kernel_traitsILi16ELi7EfEEv18HadamardParamsBase.num_agpr, 0
	.set _Z30fast_hadamard_transform_kernelI37fast_hadamard_transform_kernel_traitsILi16ELi7EfEEv18HadamardParamsBase.numbered_sgpr, 16
	.set _Z30fast_hadamard_transform_kernelI37fast_hadamard_transform_kernel_traitsILi16ELi7EfEEv18HadamardParamsBase.num_named_barrier, 0
	.set _Z30fast_hadamard_transform_kernelI37fast_hadamard_transform_kernel_traitsILi16ELi7EfEEv18HadamardParamsBase.private_seg_size, 0
	.set _Z30fast_hadamard_transform_kernelI37fast_hadamard_transform_kernel_traitsILi16ELi7EfEEv18HadamardParamsBase.uses_vcc, 1
	.set _Z30fast_hadamard_transform_kernelI37fast_hadamard_transform_kernel_traitsILi16ELi7EfEEv18HadamardParamsBase.uses_flat_scratch, 0
	.set _Z30fast_hadamard_transform_kernelI37fast_hadamard_transform_kernel_traitsILi16ELi7EfEEv18HadamardParamsBase.has_dyn_sized_stack, 0
	.set _Z30fast_hadamard_transform_kernelI37fast_hadamard_transform_kernel_traitsILi16ELi7EfEEv18HadamardParamsBase.has_recursion, 0
	.set _Z30fast_hadamard_transform_kernelI37fast_hadamard_transform_kernel_traitsILi16ELi7EfEEv18HadamardParamsBase.has_indirect_call, 0
	.section	.AMDGPU.csdata,"",@progbits
; Kernel info:
; codeLenInByte = 1424
; TotalNumSgprs: 18
; NumVgprs: 26
; ScratchSize: 0
; MemoryBound: 0
; FloatMode: 240
; IeeeMode: 1
; LDSByteSize: 0 bytes/workgroup (compile time only)
; SGPRBlocks: 0
; VGPRBlocks: 1
; NumSGPRsForWavesPerEU: 18
; NumVGPRsForWavesPerEU: 26
; NamedBarCnt: 0
; Occupancy: 16
; WaveLimiterHint : 0
; COMPUTE_PGM_RSRC2:SCRATCH_EN: 0
; COMPUTE_PGM_RSRC2:USER_SGPR: 2
; COMPUTE_PGM_RSRC2:TRAP_HANDLER: 0
; COMPUTE_PGM_RSRC2:TGID_X_EN: 1
; COMPUTE_PGM_RSRC2:TGID_Y_EN: 0
; COMPUTE_PGM_RSRC2:TGID_Z_EN: 0
; COMPUTE_PGM_RSRC2:TIDIG_COMP_CNT: 0
	.section	.text._Z30fast_hadamard_transform_kernelI37fast_hadamard_transform_kernel_traitsILi32ELi8EfEEv18HadamardParamsBase,"axG",@progbits,_Z30fast_hadamard_transform_kernelI37fast_hadamard_transform_kernel_traitsILi32ELi8EfEEv18HadamardParamsBase,comdat
	.protected	_Z30fast_hadamard_transform_kernelI37fast_hadamard_transform_kernel_traitsILi32ELi8EfEEv18HadamardParamsBase ; -- Begin function _Z30fast_hadamard_transform_kernelI37fast_hadamard_transform_kernel_traitsILi32ELi8EfEEv18HadamardParamsBase
	.globl	_Z30fast_hadamard_transform_kernelI37fast_hadamard_transform_kernel_traitsILi32ELi8EfEEv18HadamardParamsBase
	.p2align	8
	.type	_Z30fast_hadamard_transform_kernelI37fast_hadamard_transform_kernel_traitsILi32ELi8EfEEv18HadamardParamsBase,@function
_Z30fast_hadamard_transform_kernelI37fast_hadamard_transform_kernel_traitsILi32ELi8EfEEv18HadamardParamsBase: ; @_Z30fast_hadamard_transform_kernelI37fast_hadamard_transform_kernel_traitsILi32ELi8EfEEv18HadamardParamsBase
; %bb.0:
	s_clause 0x3
	s_load_b128 s[4:7], s[0:1], 0x10
	s_load_b32 s14, s[0:1], 0x4
	s_load_b128 s[8:11], s[0:1], 0x28
	s_load_b32 s15, s[0:1], 0x44
	s_bfe_u32 s3, ttmp6, 0x4000c
	s_and_b32 s2, ttmp6, 15
	s_add_co_i32 s3, s3, 1
	s_getreg_b32 s12, hwreg(HW_REG_IB_STS2, 6, 4)
	s_mul_i32 s3, ttmp9, s3
	v_dual_mov_b32 v2, 0 :: v_dual_lshlrev_b32 v1, 2, v0
	s_add_co_i32 s2, s2, s3
	s_cmp_eq_u32 s12, 0
	v_dual_mov_b32 v8, 0 :: v_dual_mov_b32 v9, 0
	s_cselect_b32 s12, ttmp9, s2
	v_dual_mov_b32 v6, 0 :: v_dual_mov_b32 v7, 0
	s_ashr_i32 s13, s12, 31
	s_wait_kmcnt 0x0
	s_mul_u64 s[2:3], s[4:5], s[12:13]
	v_cmp_gt_u32_e32 vcc_lo, s14, v1
	s_lshl_b64 s[2:3], s[2:3], 2
	s_delay_alu instid0(SALU_CYCLE_1)
	s_add_nc_u64 s[2:3], s[8:9], s[2:3]
	s_and_saveexec_b32 s4, vcc_lo
	s_cbranch_execz .LBB5_2
; %bb.1:
	global_load_b128 v[4:7], v0, s[2:3] scale_offset
	s_wait_loadcnt 0x0
	v_dual_mov_b32 v8, v4 :: v_dual_mov_b32 v9, v6
	v_mov_b32_e32 v6, v5
.LBB5_2:
	s_or_b32 exec_lo, exec_lo, s4
	s_load_b32 s4, s[0:1], 0x20
	s_wait_xcnt 0x0
	s_and_b32 s0, 0xffff, s15
	s_delay_alu instid0(SALU_CYCLE_1) | instskip(NEXT) | instid1(VALU_DEP_1)
	v_dual_mov_b32 v10, 0 :: v_dual_add_nc_u32 v1, s0, v0
	v_dual_mov_b32 v11, 0 :: v_dual_lshlrev_b32 v3, 2, v1
	s_delay_alu instid0(VALU_DEP_1)
	v_cmp_gt_u32_e64 s0, s14, v3
	v_mov_b32_e32 v3, 0
	s_and_saveexec_b32 s1, s0
	s_cbranch_execz .LBB5_4
; %bb.3:
	global_load_b128 v[2:5], v1, s[2:3] scale_offset
	s_wait_loadcnt 0x0
	v_dual_mov_b32 v10, v3 :: v_dual_mov_b32 v3, v4
	v_mov_b32_e32 v11, v5
.LBB5_4:
	s_or_b32 exec_lo, exec_lo, s1
	v_mbcnt_lo_u32_b32 v18, -1, 0
	v_pk_add_f32 v[4:5], v[8:9], v[6:7]
	v_pk_add_f32 v[6:7], v[8:9], v[6:7] neg_lo:[0,1] neg_hi:[0,1]
	s_wait_kmcnt 0x0
	s_mov_b32 s5, s4
	s_delay_alu instid0(VALU_DEP_2) | instskip(NEXT) | instid1(VALU_DEP_2)
	v_dual_mov_b32 v8, v4 :: v_dual_bitop2_b32 v14, 1, v18 bitop3:0x14
	v_dual_mov_b32 v9, v7 :: v_dual_mov_b32 v12, v5
	v_xor_b32_e32 v19, 2, v18
	s_delay_alu instid0(VALU_DEP_3) | instskip(NEXT) | instid1(VALU_DEP_2)
	v_cmp_gt_i32_e64 s1, 32, v14
	v_cmp_gt_i32_e64 s2, 32, v19
	s_delay_alu instid0(VALU_DEP_2) | instskip(SKIP_3) | instid1(VALU_DEP_3)
	v_cndmask_b32_e64 v16, v18, v14, s1
	v_pk_add_f32 v[14:15], v[2:3], v[10:11]
	v_pk_add_f32 v[2:3], v[2:3], v[10:11] neg_lo:[0,1] neg_hi:[0,1]
	v_dual_mov_b32 v13, v6 :: v_dual_bitop2_b32 v10, 1, v0 bitop3:0x40
	v_dual_add_f32 v16, v14, v15 :: v_dual_lshlrev_b32 v11, 2, v16
	v_sub_f32_e32 v14, v14, v15
	s_delay_alu instid0(VALU_DEP_4) | instskip(NEXT) | instid1(VALU_DEP_4)
	v_dual_add_f32 v15, v2, v3 :: v_dual_sub_f32 v17, v2, v3
	v_pk_add_f32 v[8:9], v[8:9], v[12:13]
	v_sub_f32_e32 v12, v4, v5
	v_cmp_eq_u32_e64 s1, 0, v10
	v_sub_f32_e32 v13, v6, v7
	ds_bpermute_b32 v2, v11, v16
	ds_bpermute_b32 v4, v11, v8
	;; [unrolled: 1-line block ×6, first 2 shown]
	v_cndmask_b32_e64 v9, -v9, v9, s1
	ds_bpermute_b32 v7, v11, v13
	ds_bpermute_b32 v11, v11, v17
	v_dual_cndmask_b32 v19, v18, v19, s2 :: v_dual_cndmask_b32 v8, -v8, v8, s1
	v_dual_cndmask_b32 v13, -v13, v13, s1 :: v_dual_bitop2_b32 v20, 2, v0 bitop3:0x40
	s_delay_alu instid0(VALU_DEP_2)
	v_dual_cndmask_b32 v12, -v12, v12, s1 :: v_dual_lshlrev_b32 v19, 2, v19
	v_cndmask_b32_e64 v14, -v14, v14, s1
	s_wait_dscnt 0x5
	v_pk_add_f32 v[4:5], v[8:9], v[4:5]
	v_dual_cndmask_b32 v8, -v16, v16, s1 :: v_dual_cndmask_b32 v9, -v15, v15, s1
	v_cndmask_b32_e64 v15, -v17, v17, s1
	v_cmp_eq_u32_e64 s1, 0, v20
	s_wait_dscnt 0x1
	v_pk_add_f32 v[6:7], v[12:13], v[6:7]
	ds_bpermute_b32 v16, v19, v4
	v_pk_add_f32 v[2:3], v[8:9], v[2:3]
	s_wait_dscnt 0x1
	v_pk_add_f32 v[8:9], v[14:15], v[10:11]
	ds_bpermute_b32 v17, v19, v5
	v_dual_cndmask_b32 v5, -v5, v5, s1 :: v_dual_bitop2_b32 v21, 4, v18 bitop3:0x14
	ds_bpermute_b32 v10, v19, v2
	ds_bpermute_b32 v11, v19, v3
	;; [unrolled: 1-line block ×6, first 2 shown]
	v_cmp_gt_i32_e64 s2, 32, v21
	v_cndmask_b32_e64 v4, -v4, v4, s1
	v_dual_cndmask_b32 v3, -v3, v3, s1 :: v_dual_bitop2_b32 v19, 4, v0 bitop3:0x40
	v_dual_cndmask_b32 v2, -v2, v2, s1 :: v_dual_cndmask_b32 v7, -v7, v7, s1
	s_delay_alu instid0(VALU_DEP_4) | instskip(SKIP_1) | instid1(VALU_DEP_4)
	v_dual_cndmask_b32 v20, v18, v21, s2 :: v_dual_bitop2_b32 v21, 8, v18 bitop3:0x14
	v_dual_cndmask_b32 v6, -v6, v6, s1 :: v_dual_cndmask_b32 v9, -v9, v9, s1
	v_cmp_eq_u32_e64 s2, 0, v19
	s_delay_alu instid0(VALU_DEP_3)
	v_lshlrev_b32_e32 v20, 2, v20
	v_cndmask_b32_e64 v8, -v8, v8, s1
	v_cmp_gt_i32_e64 s1, 32, v21
	s_wait_dscnt 0x6
	v_pk_add_f32 v[4:5], v[4:5], v[16:17]
	s_wait_dscnt 0x4
	v_pk_add_f32 v[2:3], v[2:3], v[10:11]
	;; [unrolled: 2-line block ×3, first 2 shown]
	v_cndmask_b32_e64 v19, v18, v21, s1
	s_wait_dscnt 0x0
	v_pk_add_f32 v[8:9], v[8:9], v[14:15]
	ds_bpermute_b32 v16, v20, v4
	ds_bpermute_b32 v17, v20, v5
	;; [unrolled: 1-line block ×8, first 2 shown]
	v_dual_cndmask_b32 v5, -v5, v5, s2 :: v_dual_cndmask_b32 v4, -v4, v4, s2
	v_dual_cndmask_b32 v3, -v3, v3, s2 :: v_dual_cndmask_b32 v2, -v2, v2, s2
	;; [unrolled: 1-line block ×4, first 2 shown]
	v_dual_lshlrev_b32 v19, 2, v19 :: v_dual_bitop2_b32 v20, 8, v0 bitop3:0x40
	s_wait_dscnt 0x6
	v_pk_add_f32 v[4:5], v[4:5], v[16:17]
	s_delay_alu instid0(VALU_DEP_2)
	v_cmp_eq_u32_e64 s1, 0, v20
	s_wait_dscnt 0x4
	v_pk_add_f32 v[2:3], v[2:3], v[10:11]
	v_xor_b32_e32 v20, 16, v18
	s_wait_dscnt 0x2
	v_pk_add_f32 v[6:7], v[6:7], v[12:13]
	ds_bpermute_b32 v16, v19, v4
	s_wait_dscnt 0x1
	v_pk_add_f32 v[8:9], v[8:9], v[14:15]
	ds_bpermute_b32 v17, v19, v5
	ds_bpermute_b32 v10, v19, v2
	;; [unrolled: 1-line block ×7, first 2 shown]
	v_cndmask_b32_e64 v5, -v5, v5, s1
	v_cmp_gt_i32_e64 s2, 32, v20
	v_dual_cndmask_b32 v2, -v2, v2, s1 :: v_dual_bitop2_b32 v19, 16, v0 bitop3:0x40
	v_cndmask_b32_e64 v3, -v3, v3, s1
	v_dual_cndmask_b32 v7, -v7, v7, s1 :: v_dual_cndmask_b32 v6, -v6, v6, s1
	s_delay_alu instid0(VALU_DEP_4) | instskip(SKIP_3) | instid1(VALU_DEP_4)
	v_cndmask_b32_e64 v18, v18, v20, s2
	v_dual_cndmask_b32 v4, -v4, v4, s1 :: v_dual_cndmask_b32 v9, -v9, v9, s1
	v_cndmask_b32_e64 v8, -v8, v8, s1
	v_cmp_eq_u32_e64 s1, 0, v19
	v_lshlrev_b32_e32 v18, 2, v18
	s_wait_dscnt 0x6
	v_pk_add_f32 v[4:5], v[4:5], v[16:17]
	s_mul_u64 s[2:3], s[6:7], s[12:13]
	s_wait_dscnt 0x4
	v_pk_add_f32 v[2:3], v[2:3], v[10:11]
	s_lshl_b64 s[2:3], s[2:3], 2
	s_wait_dscnt 0x2
	v_pk_add_f32 v[6:7], v[6:7], v[12:13]
	ds_bpermute_b32 v10, v18, v4
	s_wait_dscnt 0x1
	v_pk_add_f32 v[8:9], v[8:9], v[14:15]
	ds_bpermute_b32 v11, v18, v5
	ds_bpermute_b32 v12, v18, v2
	;; [unrolled: 1-line block ×7, first 2 shown]
	v_dual_cndmask_b32 v5, -v5, v5, s1 :: v_dual_cndmask_b32 v4, -v4, v4, s1
	v_dual_cndmask_b32 v3, -v3, v3, s1 :: v_dual_cndmask_b32 v2, -v2, v2, s1
	;; [unrolled: 1-line block ×4, first 2 shown]
	s_add_nc_u64 s[2:3], s[10:11], s[2:3]
	s_wait_dscnt 0x6
	v_pk_add_f32 v[4:5], v[4:5], v[10:11]
	s_wait_dscnt 0x4
	v_pk_add_f32 v[6:7], v[2:3], v[12:13]
	;; [unrolled: 2-line block ×4, first 2 shown]
	s_and_saveexec_b32 s1, vcc_lo
	s_cbranch_execnz .LBB5_7
; %bb.5:
	s_or_b32 exec_lo, exec_lo, s1
	s_and_saveexec_b32 s1, s0
	s_cbranch_execnz .LBB5_8
.LBB5_6:
	s_endpgm
.LBB5_7:
	v_mov_b64_e32 v[12:13], s[4:5]
	v_pk_add_f32 v[10:11], v[4:5], v[6:7]
	v_pk_add_f32 v[14:15], v[2:3], v[8:9]
	s_delay_alu instid0(VALU_DEP_2) | instskip(NEXT) | instid1(VALU_DEP_2)
	v_pk_mul_f32 v[10:11], v[12:13], v[10:11]
	v_pk_mul_f32 v[12:13], v[12:13], v[14:15]
	global_store_b128 v0, v[10:13], s[2:3] scale_offset
	s_wait_xcnt 0x0
	s_or_b32 exec_lo, exec_lo, s1
	s_and_saveexec_b32 s1, s0
	s_cbranch_execz .LBB5_6
.LBB5_8:
	v_pk_add_f32 v[4:5], v[4:5], v[6:7] neg_lo:[0,1] neg_hi:[0,1]
	v_mov_b64_e32 v[6:7], s[4:5]
	v_pk_add_f32 v[8:9], v[2:3], v[8:9] neg_lo:[0,1] neg_hi:[0,1]
	s_delay_alu instid0(VALU_DEP_2) | instskip(NEXT) | instid1(VALU_DEP_2)
	v_pk_mul_f32 v[2:3], v[6:7], v[4:5]
	v_pk_mul_f32 v[4:5], v[6:7], v[8:9]
	global_store_b128 v1, v[2:5], s[2:3] scale_offset
	s_endpgm
	.section	.rodata,"a",@progbits
	.p2align	6, 0x0
	.amdhsa_kernel _Z30fast_hadamard_transform_kernelI37fast_hadamard_transform_kernel_traitsILi32ELi8EfEEv18HadamardParamsBase
		.amdhsa_group_segment_fixed_size 0
		.amdhsa_private_segment_fixed_size 0
		.amdhsa_kernarg_size 312
		.amdhsa_user_sgpr_count 2
		.amdhsa_user_sgpr_dispatch_ptr 0
		.amdhsa_user_sgpr_queue_ptr 0
		.amdhsa_user_sgpr_kernarg_segment_ptr 1
		.amdhsa_user_sgpr_dispatch_id 0
		.amdhsa_user_sgpr_kernarg_preload_length 0
		.amdhsa_user_sgpr_kernarg_preload_offset 0
		.amdhsa_user_sgpr_private_segment_size 0
		.amdhsa_wavefront_size32 1
		.amdhsa_uses_dynamic_stack 0
		.amdhsa_enable_private_segment 0
		.amdhsa_system_sgpr_workgroup_id_x 1
		.amdhsa_system_sgpr_workgroup_id_y 0
		.amdhsa_system_sgpr_workgroup_id_z 0
		.amdhsa_system_sgpr_workgroup_info 0
		.amdhsa_system_vgpr_workitem_id 0
		.amdhsa_next_free_vgpr 22
		.amdhsa_next_free_sgpr 16
		.amdhsa_named_barrier_count 0
		.amdhsa_reserve_vcc 1
		.amdhsa_float_round_mode_32 0
		.amdhsa_float_round_mode_16_64 0
		.amdhsa_float_denorm_mode_32 3
		.amdhsa_float_denorm_mode_16_64 3
		.amdhsa_fp16_overflow 0
		.amdhsa_memory_ordered 1
		.amdhsa_forward_progress 1
		.amdhsa_inst_pref_size 13
		.amdhsa_round_robin_scheduling 0
		.amdhsa_exception_fp_ieee_invalid_op 0
		.amdhsa_exception_fp_denorm_src 0
		.amdhsa_exception_fp_ieee_div_zero 0
		.amdhsa_exception_fp_ieee_overflow 0
		.amdhsa_exception_fp_ieee_underflow 0
		.amdhsa_exception_fp_ieee_inexact 0
		.amdhsa_exception_int_div_zero 0
	.end_amdhsa_kernel
	.section	.text._Z30fast_hadamard_transform_kernelI37fast_hadamard_transform_kernel_traitsILi32ELi8EfEEv18HadamardParamsBase,"axG",@progbits,_Z30fast_hadamard_transform_kernelI37fast_hadamard_transform_kernel_traitsILi32ELi8EfEEv18HadamardParamsBase,comdat
.Lfunc_end5:
	.size	_Z30fast_hadamard_transform_kernelI37fast_hadamard_transform_kernel_traitsILi32ELi8EfEEv18HadamardParamsBase, .Lfunc_end5-_Z30fast_hadamard_transform_kernelI37fast_hadamard_transform_kernel_traitsILi32ELi8EfEEv18HadamardParamsBase
                                        ; -- End function
	.set _Z30fast_hadamard_transform_kernelI37fast_hadamard_transform_kernel_traitsILi32ELi8EfEEv18HadamardParamsBase.num_vgpr, 22
	.set _Z30fast_hadamard_transform_kernelI37fast_hadamard_transform_kernel_traitsILi32ELi8EfEEv18HadamardParamsBase.num_agpr, 0
	.set _Z30fast_hadamard_transform_kernelI37fast_hadamard_transform_kernel_traitsILi32ELi8EfEEv18HadamardParamsBase.numbered_sgpr, 16
	.set _Z30fast_hadamard_transform_kernelI37fast_hadamard_transform_kernel_traitsILi32ELi8EfEEv18HadamardParamsBase.num_named_barrier, 0
	.set _Z30fast_hadamard_transform_kernelI37fast_hadamard_transform_kernel_traitsILi32ELi8EfEEv18HadamardParamsBase.private_seg_size, 0
	.set _Z30fast_hadamard_transform_kernelI37fast_hadamard_transform_kernel_traitsILi32ELi8EfEEv18HadamardParamsBase.uses_vcc, 1
	.set _Z30fast_hadamard_transform_kernelI37fast_hadamard_transform_kernel_traitsILi32ELi8EfEEv18HadamardParamsBase.uses_flat_scratch, 0
	.set _Z30fast_hadamard_transform_kernelI37fast_hadamard_transform_kernel_traitsILi32ELi8EfEEv18HadamardParamsBase.has_dyn_sized_stack, 0
	.set _Z30fast_hadamard_transform_kernelI37fast_hadamard_transform_kernel_traitsILi32ELi8EfEEv18HadamardParamsBase.has_recursion, 0
	.set _Z30fast_hadamard_transform_kernelI37fast_hadamard_transform_kernel_traitsILi32ELi8EfEEv18HadamardParamsBase.has_indirect_call, 0
	.section	.AMDGPU.csdata,"",@progbits
; Kernel info:
; codeLenInByte = 1572
; TotalNumSgprs: 18
; NumVgprs: 22
; ScratchSize: 0
; MemoryBound: 0
; FloatMode: 240
; IeeeMode: 1
; LDSByteSize: 0 bytes/workgroup (compile time only)
; SGPRBlocks: 0
; VGPRBlocks: 1
; NumSGPRsForWavesPerEU: 18
; NumVGPRsForWavesPerEU: 22
; NamedBarCnt: 0
; Occupancy: 16
; WaveLimiterHint : 0
; COMPUTE_PGM_RSRC2:SCRATCH_EN: 0
; COMPUTE_PGM_RSRC2:USER_SGPR: 2
; COMPUTE_PGM_RSRC2:TRAP_HANDLER: 0
; COMPUTE_PGM_RSRC2:TGID_X_EN: 1
; COMPUTE_PGM_RSRC2:TGID_Y_EN: 0
; COMPUTE_PGM_RSRC2:TGID_Z_EN: 0
; COMPUTE_PGM_RSRC2:TIDIG_COMP_CNT: 0
	.section	.text._Z30fast_hadamard_transform_kernelI37fast_hadamard_transform_kernel_traitsILi32ELi9EfEEv18HadamardParamsBase,"axG",@progbits,_Z30fast_hadamard_transform_kernelI37fast_hadamard_transform_kernel_traitsILi32ELi9EfEEv18HadamardParamsBase,comdat
	.protected	_Z30fast_hadamard_transform_kernelI37fast_hadamard_transform_kernel_traitsILi32ELi9EfEEv18HadamardParamsBase ; -- Begin function _Z30fast_hadamard_transform_kernelI37fast_hadamard_transform_kernel_traitsILi32ELi9EfEEv18HadamardParamsBase
	.globl	_Z30fast_hadamard_transform_kernelI37fast_hadamard_transform_kernel_traitsILi32ELi9EfEEv18HadamardParamsBase
	.p2align	8
	.type	_Z30fast_hadamard_transform_kernelI37fast_hadamard_transform_kernel_traitsILi32ELi9EfEEv18HadamardParamsBase,@function
_Z30fast_hadamard_transform_kernelI37fast_hadamard_transform_kernel_traitsILi32ELi9EfEEv18HadamardParamsBase: ; @_Z30fast_hadamard_transform_kernelI37fast_hadamard_transform_kernel_traitsILi32ELi9EfEEv18HadamardParamsBase
; %bb.0:
	s_clause 0x3
	s_load_b128 s[8:11], s[0:1], 0x10
	s_load_b32 s6, s[0:1], 0x4
	s_load_b128 s[12:15], s[0:1], 0x28
	s_load_b32 s2, s[0:1], 0x44
	s_bfe_u32 s4, ttmp6, 0x4000c
	s_and_b32 s3, ttmp6, 15
	s_add_co_i32 s4, s4, 1
	s_getreg_b32 s5, hwreg(HW_REG_IB_STS2, 6, 4)
	s_mul_i32 s4, ttmp9, s4
	v_dual_mov_b32 v14, 0 :: v_dual_lshlrev_b32 v1, 2, v0
	s_add_co_i32 s3, s3, s4
	s_cmp_eq_u32 s5, 0
	v_dual_mov_b32 v16, 0 :: v_dual_mov_b32 v17, 0
	s_cselect_b32 s16, ttmp9, s3
	v_dual_mov_b32 v4, 0 :: v_dual_mov_b32 v5, 0
	s_ashr_i32 s17, s16, 31
	s_wait_kmcnt 0x0
	s_mul_u64 s[4:5], s[8:9], s[16:17]
	v_cmp_gt_u32_e32 vcc_lo, s6, v1
	s_lshl_b64 s[4:5], s[4:5], 2
	s_delay_alu instid0(SALU_CYCLE_1)
	s_add_nc_u64 s[4:5], s[12:13], s[4:5]
	s_and_saveexec_b32 s3, vcc_lo
	s_cbranch_execz .LBB6_2
; %bb.1:
	global_load_b128 v[2:5], v0, s[4:5] scale_offset
	s_wait_loadcnt 0x0
	v_dual_mov_b32 v16, v2 :: v_dual_mov_b32 v17, v4
	v_mov_b32_e32 v4, v3
.LBB6_2:
	s_or_b32 exec_lo, exec_lo, s3
	s_and_b32 s7, 0xffff, s2
	s_delay_alu instid0(SALU_CYCLE_1) | instskip(SKIP_1) | instid1(VALU_DEP_2)
	v_dual_mov_b32 v13, 0 :: v_dual_add_nc_u32 v26, s7, v0
	v_dual_mov_b32 v15, 0 :: v_dual_mov_b32 v12, 0
	v_lshlrev_b32_e32 v1, 2, v26
	s_delay_alu instid0(VALU_DEP_1)
	v_cmp_gt_u32_e64 s2, s6, v1
	s_and_saveexec_b32 s3, s2
	s_cbranch_execz .LBB6_4
; %bb.3:
	global_load_b128 v[10:13], v26, s[4:5] scale_offset
	s_wait_loadcnt 0x0
	v_dual_mov_b32 v14, v10 :: v_dual_mov_b32 v15, v12
	v_mov_b32_e32 v12, v11
.LBB6_4:
	s_or_b32 exec_lo, exec_lo, s3
	v_dual_mov_b32 v6, 0 :: v_dual_add_nc_u32 v27, s7, v26
	v_dual_mov_b32 v3, 0 :: v_dual_mov_b32 v10, 0
	s_delay_alu instid0(VALU_DEP_2) | instskip(SKIP_1) | instid1(VALU_DEP_2)
	v_dual_mov_b32 v11, 0 :: v_dual_lshlrev_b32 v1, 2, v27
	v_mov_b32_e32 v2, 0
	v_cmp_gt_u32_e64 s3, s6, v1
	s_and_saveexec_b32 s8, s3
	s_cbranch_execz .LBB6_6
; %bb.5:
	global_load_b128 v[8:11], v27, s[4:5] scale_offset
	s_wait_loadcnt 0x0
	v_dual_mov_b32 v2, v8 :: v_dual_mov_b32 v3, v10
	v_mov_b32_e32 v10, v9
.LBB6_6:
	s_or_b32 exec_lo, exec_lo, s8
	s_load_b32 s8, s[0:1], 0x20
	v_dual_add_nc_u32 v28, s7, v27 :: v_dual_mov_b32 v18, 0
	v_dual_mov_b32 v19, 0 :: v_dual_mov_b32 v7, 0
	s_delay_alu instid0(VALU_DEP_2) | instskip(SKIP_1) | instid1(VALU_DEP_1)
	v_lshlrev_b32_e32 v1, 2, v28
	s_wait_xcnt 0x0
	v_cmp_gt_u32_e64 s0, s6, v1
	s_and_saveexec_b32 s1, s0
	s_cbranch_execz .LBB6_8
; %bb.7:
	global_load_b128 v[6:9], v28, s[4:5] scale_offset
	s_wait_loadcnt 0x0
	v_dual_mov_b32 v18, v7 :: v_dual_mov_b32 v7, v8
	v_mov_b32_e32 v19, v9
.LBB6_8:
	s_or_b32 exec_lo, exec_lo, s1
	v_pk_add_f32 v[24:25], v[2:3], v[10:11]
	v_mbcnt_lo_u32_b32 v1, -1, 0
	v_pk_add_f32 v[8:9], v[16:17], v[4:5]
	v_pk_add_f32 v[4:5], v[16:17], v[4:5] neg_lo:[0,1] neg_hi:[0,1]
	v_pk_add_f32 v[2:3], v[2:3], v[10:11] neg_lo:[0,1] neg_hi:[0,1]
	s_delay_alu instid0(VALU_DEP_4) | instskip(SKIP_3) | instid1(VALU_DEP_4)
	v_dual_mov_b32 v30, v24 :: v_dual_bitop2_b32 v29, 1, v1 bitop3:0x14
	v_pk_add_f32 v[16:17], v[14:15], v[12:13]
	v_pk_add_f32 v[12:13], v[14:15], v[12:13] neg_lo:[0,1] neg_hi:[0,1]
	v_dual_mov_b32 v14, v8 :: v_dual_mov_b32 v15, v5
	v_cmp_gt_i32_e64 s1, 32, v29
	v_dual_mov_b32 v20, v9 :: v_dual_mov_b32 v21, v4
	v_mov_b32_e32 v33, v2
	v_pk_add_f32 v[34:35], v[6:7], v[18:19]
	s_delay_alu instid0(VALU_DEP_4)
	v_cndmask_b32_e64 v29, v1, v29, s1
	v_pk_add_f32 v[6:7], v[6:7], v[18:19] neg_lo:[0,1] neg_hi:[0,1]
	v_sub_f32_e32 v18, v8, v9
	v_pk_add_f32 v[8:9], v[14:15], v[20:21]
	v_dual_mov_b32 v22, v16 :: v_dual_mov_b32 v23, v13
	v_dual_mov_b32 v10, v17 :: v_dual_lshlrev_b32 v19, 2, v29
	v_mov_b32_e32 v11, v12
	v_dual_sub_f32 v16, v16, v17 :: v_dual_sub_f32 v15, v34, v35
	v_dual_sub_f32 v17, v24, v25 :: v_dual_add_f32 v14, v34, v35
	v_dual_sub_f32 v20, v4, v5 :: v_dual_add_f32 v24, v6, v7
	ds_bpermute_b32 v4, v19, v8
	ds_bpermute_b32 v5, v19, v9
	;; [unrolled: 1-line block ×3, first 2 shown]
	v_dual_mov_b32 v31, v3 :: v_dual_mov_b32 v32, v25
	v_dual_sub_f32 v12, v12, v13 :: v_dual_sub_f32 v25, v6, v7
	v_dual_sub_f32 v13, v2, v3 :: v_dual_bitop2_b32 v2, 1, v0 bitop3:0x40
	ds_bpermute_b32 v7, v19, v20
	ds_bpermute_b32 v35, v19, v17
	;; [unrolled: 1-line block ×4, first 2 shown]
	v_cmp_eq_u32_e64 s4, 0, v2
	v_and_b32_e32 v6, 2, v0
	ds_bpermute_b32 v36, v19, v13
	ds_bpermute_b32 v38, v19, v24
	;; [unrolled: 1-line block ×3, first 2 shown]
	v_dual_cndmask_b32 v18, -v18, v18, s4 :: v_dual_cndmask_b32 v3, -v9, v9, s4
	v_cndmask_b32_e64 v2, -v8, v8, s4
	v_cmp_eq_u32_e64 s1, 0, v6
	s_wait_dscnt 0x7
	s_delay_alu instid0(VALU_DEP_3)
	v_dual_cndmask_b32 v6, -v20, v20, s4 :: v_dual_add_f32 v41, v18, v21
	v_cndmask_b32_e64 v8, -v16, v16, s4
	v_pk_add_f32 v[2:3], v[2:3], v[4:5]
	v_dual_cndmask_b32 v9, -v12, v12, s4 :: v_dual_cndmask_b32 v12, -v17, v17, s4
	v_pk_add_f32 v[4:5], v[22:23], v[10:11]
	ds_bpermute_b32 v39, v19, v15
	s_wait_dscnt 0x7
	v_add_f32_e32 v42, v6, v7
	ds_bpermute_b32 v40, v19, v25
	s_wait_dscnt 0x7
	v_dual_add_f32 v35, v12, v35 :: v_dual_cndmask_b32 v12, -v13, v13, s4
	ds_bpermute_b32 v6, v19, v4
	ds_bpermute_b32 v7, v19, v5
	v_dual_cndmask_b32 v14, -v14, v14, s4 :: v_dual_bitop2_b32 v13, 2, v1 bitop3:0x14
	s_wait_dscnt 0x7
	v_dual_add_f32 v29, v8, v29 :: v_dual_add_f32 v34, v9, v34
	v_pk_add_f32 v[8:9], v[30:31], v[32:33]
	s_delay_alu instid0(VALU_DEP_3)
	v_cmp_gt_i32_e64 s5, 32, v13
	v_cndmask_b32_e64 v16, -v24, v24, s4
	s_wait_dscnt 0x4
	v_dual_add_f32 v30, v12, v36 :: v_dual_add_f32 v22, v14, v37
	ds_bpermute_b32 v10, v19, v8
	v_cndmask_b32_e64 v13, v1, v13, s5
	ds_bpermute_b32 v11, v19, v9
	v_dual_cndmask_b32 v12, -v15, v15, s4 :: v_dual_add_f32 v23, v16, v38
	v_cndmask_b32_e64 v5, -v5, v5, s4
	v_dual_lshlrev_b32 v31, 2, v13 :: v_dual_cndmask_b32 v4, -v4, v4, s4
	s_wait_dscnt 0x5
	s_delay_alu instid0(VALU_DEP_3)
	v_dual_add_f32 v32, v12, v39 :: v_dual_cndmask_b32 v14, -v25, v25, s4
	v_xor_b32_e32 v17, 4, v1
	ds_bpermute_b32 v12, v31, v2
	ds_bpermute_b32 v13, v31, v3
	s_wait_dscnt 0x4
	v_pk_add_f32 v[4:5], v[4:5], v[6:7]
	v_dual_cndmask_b32 v6, -v8, v8, s4 :: v_dual_cndmask_b32 v7, -v9, v9, s4
	v_dual_add_f32 v33, v14, v40 :: v_dual_cndmask_b32 v3, -v3, v3, s1
	ds_bpermute_b32 v14, v31, v4
	ds_bpermute_b32 v15, v31, v5
	v_cmp_gt_i32_e64 s4, 32, v17
	v_cndmask_b32_e64 v2, -v2, v2, s1
	s_wait_dscnt 0x4
	v_pk_add_f32 v[6:7], v[6:7], v[10:11]
	v_dual_cndmask_b32 v5, -v5, v5, s1 :: v_dual_cndmask_b32 v4, -v4, v4, s1
	v_xor_b32_e32 v20, 8, v1
	v_cndmask_b32_e64 v19, v1, v17, s4
	ds_bpermute_b32 v16, v31, v6
	ds_bpermute_b32 v17, v31, v7
	;; [unrolled: 1-line block ×3, first 2 shown]
	v_dual_cndmask_b32 v7, -v7, v7, s1 :: v_dual_bitop2_b32 v24, 4, v0 bitop3:0x40
	v_lshlrev_b32_e32 v36, 2, v19
	s_wait_dscnt 0x5
	v_pk_add_f32 v[2:3], v[2:3], v[12:13]
	ds_bpermute_b32 v19, v31, v23
	v_cmp_gt_i32_e64 s4, 32, v20
	v_cndmask_b32_e64 v6, -v6, v6, s1
	v_cmp_eq_u32_e64 s5, 0, v24
	ds_bpermute_b32 v12, v36, v2
	s_wait_dscnt 0x5
	v_pk_add_f32 v[4:5], v[4:5], v[14:15]
	ds_bpermute_b32 v13, v36, v3
	v_dual_cndmask_b32 v25, v1, v20, s4 :: v_dual_cndmask_b32 v3, -v3, v3, s5
	v_cndmask_b32_e64 v2, -v2, v2, s5
	ds_bpermute_b32 v14, v36, v4
	ds_bpermute_b32 v15, v36, v5
	v_lshlrev_b32_e32 v37, 2, v25
	v_cndmask_b32_e64 v5, -v5, v5, s5
	s_wait_dscnt 0x6
	v_pk_add_f32 v[6:7], v[6:7], v[16:17]
	v_dual_cndmask_b32 v17, -v23, v23, s1 :: v_dual_cndmask_b32 v16, -v22, v22, s1
	v_cndmask_b32_e64 v4, -v4, v4, s5
	ds_bpermute_b32 v8, v31, v41
	ds_bpermute_b32 v9, v31, v42
	;; [unrolled: 1-line block ×3, first 2 shown]
	s_wait_dscnt 0x7
	v_pk_add_f32 v[16:17], v[16:17], v[18:19]
	ds_bpermute_b32 v11, v31, v34
	ds_bpermute_b32 v20, v31, v35
	;; [unrolled: 1-line block ×4, first 2 shown]
	s_wait_dscnt 0x9
	v_pk_add_f32 v[2:3], v[2:3], v[12:13]
	ds_bpermute_b32 v12, v31, v32
	ds_bpermute_b32 v18, v36, v16
	ds_bpermute_b32 v19, v36, v17
	ds_bpermute_b32 v13, v31, v33
	v_xor_b32_e32 v31, 16, v1
	s_wait_dscnt 0xb
	v_pk_add_f32 v[4:5], v[4:5], v[14:15]
	ds_bpermute_b32 v14, v37, v2
	ds_bpermute_b32 v15, v37, v3
	;; [unrolled: 1-line block ×3, first 2 shown]
	v_dual_cndmask_b32 v7, -v7, v7, s5 :: v_dual_bitop2_b32 v38, 8, v0 bitop3:0x40
	ds_bpermute_b32 v24, v37, v4
	ds_bpermute_b32 v25, v37, v5
	v_cmp_gt_i32_e64 s4, 32, v31
	v_cmp_eq_u32_e64 s6, 0, v38
	v_dual_cndmask_b32 v17, -v17, v17, s5 :: v_dual_cndmask_b32 v16, -v16, v16, s5
	v_dual_cndmask_b32 v6, -v6, v6, s5 :: v_dual_bitop2_b32 v38, 16, v0 bitop3:0x40
	s_delay_alu instid0(VALU_DEP_3) | instskip(SKIP_1) | instid1(VALU_DEP_2)
	v_dual_cndmask_b32 v1, v1, v31, s4 :: v_dual_cndmask_b32 v2, -v2, v2, s6
	v_dual_cndmask_b32 v3, -v3, v3, s6 :: v_dual_cndmask_b32 v5, -v5, v5, s6
	v_dual_cndmask_b32 v4, -v4, v4, s6 :: v_dual_lshlrev_b32 v1, 2, v1
	v_dual_cndmask_b32 v31, -v30, v30, s1 :: v_dual_cndmask_b32 v30, -v35, v35, s1
	v_cndmask_b32_e64 v33, -v33, v33, s1
	s_wait_dscnt 0x3
	v_pk_add_f32 v[2:3], v[2:3], v[14:15]
	v_pk_add_f32 v[14:15], v[16:17], v[18:19]
	s_wait_dscnt 0x2
	v_pk_add_f32 v[6:7], v[6:7], v[22:23]
	v_cndmask_b32_e64 v23, -v42, v42, s1
	s_wait_dscnt 0x0
	v_pk_add_f32 v[4:5], v[4:5], v[24:25]
	v_dual_cndmask_b32 v22, -v41, v41, s1 :: v_dual_cndmask_b32 v25, -v34, v34, s1
	ds_bpermute_b32 v19, v37, v15
	v_dual_cndmask_b32 v15, -v15, v15, s6 :: v_dual_cndmask_b32 v24, -v29, v29, s1
	v_cndmask_b32_e64 v32, -v32, v32, s1
	ds_bpermute_b32 v18, v37, v14
	v_pk_add_f32 v[8:9], v[22:23], v[8:9]
	v_cndmask_b32_e64 v14, -v14, v14, s6
	v_pk_add_f32 v[10:11], v[24:25], v[10:11]
	v_pk_add_f32 v[20:21], v[30:31], v[20:21]
	;; [unrolled: 1-line block ×3, first 2 shown]
	ds_bpermute_b32 v22, v36, v8
	ds_bpermute_b32 v23, v36, v9
	;; [unrolled: 1-line block ×8, first 2 shown]
	v_dual_cndmask_b32 v9, -v9, v9, s5 :: v_dual_cndmask_b32 v8, -v8, v8, s5
	v_dual_cndmask_b32 v11, -v11, v11, s5 :: v_dual_cndmask_b32 v10, -v10, v10, s5
	;; [unrolled: 1-line block ×4, first 2 shown]
	ds_bpermute_b32 v16, v37, v6
	ds_bpermute_b32 v17, v37, v7
	v_dual_cndmask_b32 v7, -v7, v7, s6 :: v_dual_cndmask_b32 v6, -v6, v6, s6
	v_cmp_eq_u32_e64 s4, 0, v38
	s_wait_dscnt 0x8
	v_pk_add_f32 v[8:9], v[8:9], v[22:23]
	s_wait_kmcnt 0x0
	s_mov_b32 s9, s8
	s_wait_dscnt 0x6
	v_pk_add_f32 v[10:11], v[10:11], v[24:25]
	s_wait_dscnt 0x4
	v_pk_add_f32 v[20:21], v[20:21], v[30:31]
	ds_bpermute_b32 v22, v37, v8
	s_wait_dscnt 0x3
	v_pk_add_f32 v[12:13], v[12:13], v[32:33]
	ds_bpermute_b32 v23, v37, v9
	ds_bpermute_b32 v24, v37, v10
	;; [unrolled: 1-line block ×7, first 2 shown]
	v_dual_cndmask_b32 v9, -v9, v9, s6 :: v_dual_cndmask_b32 v8, -v8, v8, s6
	s_wait_dscnt 0x8
	v_pk_add_f32 v[6:7], v[6:7], v[16:17]
	v_dual_cndmask_b32 v11, -v11, v11, s6 :: v_dual_cndmask_b32 v10, -v10, v10, s6
	v_dual_cndmask_b32 v21, -v21, v21, s6 :: v_dual_cndmask_b32 v20, -v20, v20, s6
	;; [unrolled: 1-line block ×3, first 2 shown]
	v_pk_add_f32 v[16:17], v[14:15], v[18:19]
	ds_bpermute_b32 v14, v1, v2
	ds_bpermute_b32 v15, v1, v3
	ds_bpermute_b32 v18, v1, v4
	ds_bpermute_b32 v19, v1, v5
	ds_bpermute_b32 v34, v1, v6
	ds_bpermute_b32 v35, v1, v7
	s_wait_dscnt 0xc
	v_pk_add_f32 v[8:9], v[8:9], v[22:23]
	s_wait_dscnt 0xa
	v_pk_add_f32 v[22:23], v[10:11], v[24:25]
	;; [unrolled: 2-line block ×4, first 2 shown]
	ds_bpermute_b32 v36, v1, v16
	ds_bpermute_b32 v37, v1, v17
	;; [unrolled: 1-line block ×10, first 2 shown]
	v_dual_cndmask_b32 v3, -v3, v3, s4 :: v_dual_cndmask_b32 v2, -v2, v2, s4
	v_dual_cndmask_b32 v5, -v5, v5, s4 :: v_dual_cndmask_b32 v4, -v4, v4, s4
	;; [unrolled: 1-line block ×3, first 2 shown]
	s_wait_dscnt 0xe
	s_delay_alu instid0(VALU_DEP_3)
	v_pk_add_f32 v[10:11], v[2:3], v[14:15]
	v_dual_cndmask_b32 v3, -v17, v17, s4 :: v_dual_cndmask_b32 v2, -v16, v16, s4
	s_wait_dscnt 0xc
	v_pk_add_f32 v[12:13], v[4:5], v[18:19]
	s_wait_dscnt 0xa
	v_pk_add_f32 v[14:15], v[6:7], v[34:35]
	v_dual_cndmask_b32 v5, -v9, v9, s4 :: v_dual_cndmask_b32 v4, -v8, v8, s4
	v_dual_cndmask_b32 v7, -v23, v23, s4 :: v_dual_cndmask_b32 v6, -v22, v22, s4
	;; [unrolled: 1-line block ×4, first 2 shown]
	s_wait_dscnt 0x8
	v_pk_add_f32 v[16:17], v[2:3], v[36:37]
	s_wait_dscnt 0x6
	v_pk_add_f32 v[18:19], v[4:5], v[30:31]
	;; [unrolled: 2-line block ×5, first 2 shown]
	s_mul_u64 s[4:5], s[10:11], s[16:17]
	v_pk_add_f32 v[4:5], v[10:11], v[12:13]
	v_pk_add_f32 v[6:7], v[14:15], v[16:17]
	;; [unrolled: 1-line block ×4, first 2 shown]
	s_lshl_b64 s[4:5], s[4:5], 2
	s_delay_alu instid0(SALU_CYCLE_1)
	s_add_nc_u64 s[4:5], s[14:15], s[4:5]
	s_and_saveexec_b32 s1, vcc_lo
	s_cbranch_execz .LBB6_10
; %bb.9:
	v_mov_b64_e32 v[32:33], s[8:9]
	v_pk_add_f32 v[30:31], v[4:5], v[6:7]
	v_pk_add_f32 v[34:35], v[2:3], v[8:9]
	s_delay_alu instid0(VALU_DEP_2) | instskip(NEXT) | instid1(VALU_DEP_2)
	v_pk_mul_f32 v[30:31], v[32:33], v[30:31]
	v_pk_mul_f32 v[32:33], v[32:33], v[34:35]
	global_store_b128 v0, v[30:33], s[4:5] scale_offset
.LBB6_10:
	s_wait_xcnt 0x0
	s_or_b32 exec_lo, exec_lo, s1
	v_pk_add_f32 v[10:11], v[10:11], v[12:13] neg_lo:[0,1] neg_hi:[0,1]
	v_pk_add_f32 v[14:15], v[14:15], v[16:17] neg_lo:[0,1] neg_hi:[0,1]
	;; [unrolled: 1-line block ×4, first 2 shown]
	s_and_saveexec_b32 s1, s2
	s_cbranch_execnz .LBB6_14
; %bb.11:
	s_or_b32 exec_lo, exec_lo, s1
	s_and_saveexec_b32 s1, s3
	s_cbranch_execnz .LBB6_15
.LBB6_12:
	s_or_b32 exec_lo, exec_lo, s1
	s_and_saveexec_b32 s1, s0
	s_cbranch_execnz .LBB6_16
.LBB6_13:
	s_endpgm
.LBB6_14:
	v_mov_b64_e32 v[18:19], s[8:9]
	v_pk_add_f32 v[16:17], v[10:11], v[14:15]
	v_pk_add_f32 v[20:21], v[0:1], v[12:13]
	s_delay_alu instid0(VALU_DEP_2) | instskip(NEXT) | instid1(VALU_DEP_2)
	v_pk_mul_f32 v[16:17], v[18:19], v[16:17]
	v_pk_mul_f32 v[18:19], v[18:19], v[20:21]
	global_store_b128 v26, v[16:19], s[4:5] scale_offset
	s_wait_xcnt 0x0
	s_or_b32 exec_lo, exec_lo, s1
	s_and_saveexec_b32 s1, s3
	s_cbranch_execz .LBB6_12
.LBB6_15:
	v_pk_add_f32 v[4:5], v[4:5], v[6:7] neg_lo:[0,1] neg_hi:[0,1]
	v_mov_b64_e32 v[6:7], s[8:9]
	v_pk_add_f32 v[8:9], v[2:3], v[8:9] neg_lo:[0,1] neg_hi:[0,1]
	s_delay_alu instid0(VALU_DEP_2) | instskip(NEXT) | instid1(VALU_DEP_2)
	v_pk_mul_f32 v[2:3], v[6:7], v[4:5]
	v_pk_mul_f32 v[4:5], v[6:7], v[8:9]
	global_store_b128 v27, v[2:5], s[4:5] scale_offset
	s_wait_xcnt 0x0
	s_or_b32 exec_lo, exec_lo, s1
	s_and_saveexec_b32 s1, s0
	s_cbranch_execz .LBB6_13
.LBB6_16:
	v_mov_b64_e32 v[4:5], s[8:9]
	v_pk_add_f32 v[2:3], v[10:11], v[14:15] neg_lo:[0,1] neg_hi:[0,1]
	v_pk_add_f32 v[6:7], v[0:1], v[12:13] neg_lo:[0,1] neg_hi:[0,1]
	s_delay_alu instid0(VALU_DEP_2) | instskip(NEXT) | instid1(VALU_DEP_2)
	v_pk_mul_f32 v[0:1], v[4:5], v[2:3]
	v_pk_mul_f32 v[2:3], v[4:5], v[6:7]
	global_store_b128 v28, v[0:3], s[4:5] scale_offset
	s_endpgm
	.section	.rodata,"a",@progbits
	.p2align	6, 0x0
	.amdhsa_kernel _Z30fast_hadamard_transform_kernelI37fast_hadamard_transform_kernel_traitsILi32ELi9EfEEv18HadamardParamsBase
		.amdhsa_group_segment_fixed_size 0
		.amdhsa_private_segment_fixed_size 0
		.amdhsa_kernarg_size 312
		.amdhsa_user_sgpr_count 2
		.amdhsa_user_sgpr_dispatch_ptr 0
		.amdhsa_user_sgpr_queue_ptr 0
		.amdhsa_user_sgpr_kernarg_segment_ptr 1
		.amdhsa_user_sgpr_dispatch_id 0
		.amdhsa_user_sgpr_kernarg_preload_length 0
		.amdhsa_user_sgpr_kernarg_preload_offset 0
		.amdhsa_user_sgpr_private_segment_size 0
		.amdhsa_wavefront_size32 1
		.amdhsa_uses_dynamic_stack 0
		.amdhsa_enable_private_segment 0
		.amdhsa_system_sgpr_workgroup_id_x 1
		.amdhsa_system_sgpr_workgroup_id_y 0
		.amdhsa_system_sgpr_workgroup_id_z 0
		.amdhsa_system_sgpr_workgroup_info 0
		.amdhsa_system_vgpr_workitem_id 0
		.amdhsa_next_free_vgpr 43
		.amdhsa_next_free_sgpr 18
		.amdhsa_named_barrier_count 0
		.amdhsa_reserve_vcc 1
		.amdhsa_float_round_mode_32 0
		.amdhsa_float_round_mode_16_64 0
		.amdhsa_float_denorm_mode_32 3
		.amdhsa_float_denorm_mode_16_64 3
		.amdhsa_fp16_overflow 0
		.amdhsa_memory_ordered 1
		.amdhsa_forward_progress 1
		.amdhsa_inst_pref_size 23
		.amdhsa_round_robin_scheduling 0
		.amdhsa_exception_fp_ieee_invalid_op 0
		.amdhsa_exception_fp_denorm_src 0
		.amdhsa_exception_fp_ieee_div_zero 0
		.amdhsa_exception_fp_ieee_overflow 0
		.amdhsa_exception_fp_ieee_underflow 0
		.amdhsa_exception_fp_ieee_inexact 0
		.amdhsa_exception_int_div_zero 0
	.end_amdhsa_kernel
	.section	.text._Z30fast_hadamard_transform_kernelI37fast_hadamard_transform_kernel_traitsILi32ELi9EfEEv18HadamardParamsBase,"axG",@progbits,_Z30fast_hadamard_transform_kernelI37fast_hadamard_transform_kernel_traitsILi32ELi9EfEEv18HadamardParamsBase,comdat
.Lfunc_end6:
	.size	_Z30fast_hadamard_transform_kernelI37fast_hadamard_transform_kernel_traitsILi32ELi9EfEEv18HadamardParamsBase, .Lfunc_end6-_Z30fast_hadamard_transform_kernelI37fast_hadamard_transform_kernel_traitsILi32ELi9EfEEv18HadamardParamsBase
                                        ; -- End function
	.set _Z30fast_hadamard_transform_kernelI37fast_hadamard_transform_kernel_traitsILi32ELi9EfEEv18HadamardParamsBase.num_vgpr, 43
	.set _Z30fast_hadamard_transform_kernelI37fast_hadamard_transform_kernel_traitsILi32ELi9EfEEv18HadamardParamsBase.num_agpr, 0
	.set _Z30fast_hadamard_transform_kernelI37fast_hadamard_transform_kernel_traitsILi32ELi9EfEEv18HadamardParamsBase.numbered_sgpr, 18
	.set _Z30fast_hadamard_transform_kernelI37fast_hadamard_transform_kernel_traitsILi32ELi9EfEEv18HadamardParamsBase.num_named_barrier, 0
	.set _Z30fast_hadamard_transform_kernelI37fast_hadamard_transform_kernel_traitsILi32ELi9EfEEv18HadamardParamsBase.private_seg_size, 0
	.set _Z30fast_hadamard_transform_kernelI37fast_hadamard_transform_kernel_traitsILi32ELi9EfEEv18HadamardParamsBase.uses_vcc, 1
	.set _Z30fast_hadamard_transform_kernelI37fast_hadamard_transform_kernel_traitsILi32ELi9EfEEv18HadamardParamsBase.uses_flat_scratch, 0
	.set _Z30fast_hadamard_transform_kernelI37fast_hadamard_transform_kernel_traitsILi32ELi9EfEEv18HadamardParamsBase.has_dyn_sized_stack, 0
	.set _Z30fast_hadamard_transform_kernelI37fast_hadamard_transform_kernel_traitsILi32ELi9EfEEv18HadamardParamsBase.has_recursion, 0
	.set _Z30fast_hadamard_transform_kernelI37fast_hadamard_transform_kernel_traitsILi32ELi9EfEEv18HadamardParamsBase.has_indirect_call, 0
	.section	.AMDGPU.csdata,"",@progbits
; Kernel info:
; codeLenInByte = 2836
; TotalNumSgprs: 20
; NumVgprs: 43
; ScratchSize: 0
; MemoryBound: 0
; FloatMode: 240
; IeeeMode: 1
; LDSByteSize: 0 bytes/workgroup (compile time only)
; SGPRBlocks: 0
; VGPRBlocks: 2
; NumSGPRsForWavesPerEU: 20
; NumVGPRsForWavesPerEU: 43
; NamedBarCnt: 0
; Occupancy: 16
; WaveLimiterHint : 0
; COMPUTE_PGM_RSRC2:SCRATCH_EN: 0
; COMPUTE_PGM_RSRC2:USER_SGPR: 2
; COMPUTE_PGM_RSRC2:TRAP_HANDLER: 0
; COMPUTE_PGM_RSRC2:TGID_X_EN: 1
; COMPUTE_PGM_RSRC2:TGID_Y_EN: 0
; COMPUTE_PGM_RSRC2:TGID_Z_EN: 0
; COMPUTE_PGM_RSRC2:TIDIG_COMP_CNT: 0
	.section	.text._Z30fast_hadamard_transform_kernelI37fast_hadamard_transform_kernel_traitsILi128ELi10EfEEv18HadamardParamsBase,"axG",@progbits,_Z30fast_hadamard_transform_kernelI37fast_hadamard_transform_kernel_traitsILi128ELi10EfEEv18HadamardParamsBase,comdat
	.protected	_Z30fast_hadamard_transform_kernelI37fast_hadamard_transform_kernel_traitsILi128ELi10EfEEv18HadamardParamsBase ; -- Begin function _Z30fast_hadamard_transform_kernelI37fast_hadamard_transform_kernel_traitsILi128ELi10EfEEv18HadamardParamsBase
	.globl	_Z30fast_hadamard_transform_kernelI37fast_hadamard_transform_kernel_traitsILi128ELi10EfEEv18HadamardParamsBase
	.p2align	8
	.type	_Z30fast_hadamard_transform_kernelI37fast_hadamard_transform_kernel_traitsILi128ELi10EfEEv18HadamardParamsBase,@function
_Z30fast_hadamard_transform_kernelI37fast_hadamard_transform_kernel_traitsILi128ELi10EfEEv18HadamardParamsBase: ; @_Z30fast_hadamard_transform_kernelI37fast_hadamard_transform_kernel_traitsILi128ELi10EfEEv18HadamardParamsBase
; %bb.0:
	s_clause 0x3
	s_load_b128 s[4:7], s[0:1], 0x10
	s_load_b32 s14, s[0:1], 0x4
	s_load_b128 s[8:11], s[0:1], 0x28
	s_load_b32 s15, s[0:1], 0x44
	s_bfe_u32 s3, ttmp6, 0x4000c
	s_and_b32 s2, ttmp6, 15
	s_add_co_i32 s3, s3, 1
	s_getreg_b32 s12, hwreg(HW_REG_IB_STS2, 6, 4)
	s_mul_i32 s3, ttmp9, s3
	v_dual_mov_b32 v2, 0 :: v_dual_lshlrev_b32 v1, 2, v0
	s_add_co_i32 s2, s2, s3
	s_cmp_eq_u32 s12, 0
	v_dual_mov_b32 v10, 0 :: v_dual_mov_b32 v11, 0
	s_cselect_b32 s12, ttmp9, s2
	v_dual_mov_b32 v6, 0 :: v_dual_mov_b32 v7, 0
	s_ashr_i32 s13, s12, 31
	s_wait_kmcnt 0x0
	s_mul_u64 s[2:3], s[4:5], s[12:13]
	v_cmp_gt_u32_e32 vcc_lo, s14, v1
	s_lshl_b64 s[2:3], s[2:3], 2
	s_delay_alu instid0(SALU_CYCLE_1)
	s_add_nc_u64 s[2:3], s[8:9], s[2:3]
	s_and_saveexec_b32 s4, vcc_lo
	s_cbranch_execz .LBB7_2
; %bb.1:
	global_load_b128 v[6:9], v0, s[2:3] scale_offset
	s_wait_loadcnt 0x0
	v_dual_mov_b32 v10, v8 :: v_dual_mov_b32 v11, v6
	v_mov_b32_e32 v6, v9
.LBB7_2:
	s_or_b32 exec_lo, exec_lo, s4
	s_load_b32 s8, s[0:1], 0x20
	s_wait_xcnt 0x0
	s_and_b32 s0, 0xffff, s15
	s_delay_alu instid0(SALU_CYCLE_1) | instskip(NEXT) | instid1(VALU_DEP_1)
	v_dual_mov_b32 v5, 0 :: v_dual_add_nc_u32 v1, s0, v0
	v_dual_mov_b32 v4, 0 :: v_dual_lshlrev_b32 v3, 2, v1
	s_delay_alu instid0(VALU_DEP_1)
	v_cmp_gt_u32_e64 s0, s14, v3
	v_mov_b32_e32 v3, 0
	s_and_saveexec_b32 s1, s0
	s_cbranch_execz .LBB7_4
; %bb.3:
	global_load_b128 v[2:5], v1, s[2:3] scale_offset
.LBB7_4:
	s_wait_xcnt 0x0
	s_or_b32 exec_lo, exec_lo, s1
	v_mbcnt_lo_u32_b32 v20, -1, 0
	s_wait_loadcnt 0x0
	v_mov_b32_e32 v12, v3
	v_pk_add_f32 v[8:9], v[10:11], v[6:7]
	v_pk_add_f32 v[6:7], v[10:11], v[6:7] neg_lo:[0,1] neg_hi:[0,1]
	v_dual_mov_b32 v11, v2 :: v_dual_mov_b32 v10, v5
	v_xor_b32_e32 v15, 1, v20
	v_pk_add_f32 v[12:13], v[2:3], v[12:13]
	s_barrier_signal -1
	s_delay_alu instid0(VALU_DEP_3) | instskip(NEXT) | instid1(VALU_DEP_3)
	v_pk_add_f32 v[2:3], v[10:11], v[2:3] neg_lo:[0,1] neg_hi:[0,1]
	v_cmp_gt_i32_e64 s1, 32, v15
	v_mov_b32_e32 v14, v9
	v_pk_add_f32 v[18:19], v[4:5], v[10:11]
	v_pk_add_f32 v[4:5], v[4:5], v[10:11] neg_lo:[0,1] neg_hi:[0,1]
	v_mov_b32_e32 v16, v8
	v_dual_cndmask_b32 v13, v20, v15, s1 :: v_dual_mov_b32 v15, v6
	v_dual_mov_b32 v17, v7 :: v_dual_bitop2_b32 v2, 1, v0 bitop3:0x40
	s_delay_alu instid0(VALU_DEP_2) | instskip(SKIP_1) | instid1(VALU_DEP_3)
	v_dual_sub_f32 v5, v7, v6 :: v_dual_lshlrev_b32 v21, 2, v13
	v_mov_b32_e32 v13, v4
	v_pk_add_f32 v[10:11], v[16:17], v[14:15]
	v_dual_mov_b32 v19, v3 :: v_dual_bitop2_b32 v14, 2, v20 bitop3:0x14
	v_sub_f32_e32 v16, v9, v8
	v_cmp_eq_u32_e64 s2, 0, v2
	ds_bpermute_b32 v6, v21, v10
	v_cmp_gt_i32_e64 s1, 32, v14
	ds_bpermute_b32 v7, v21, v11
	ds_bpermute_b32 v8, v21, v16
	;; [unrolled: 1-line block ×3, first 2 shown]
	v_dual_cndmask_b32 v11, -v11, v11, s2 :: v_dual_cndmask_b32 v17, v20, v14, s1
	v_pk_add_f32 v[14:15], v[18:19], v[12:13]
	v_dual_sub_f32 v18, v12, v18 :: v_dual_sub_f32 v19, v3, v4
	v_dual_cndmask_b32 v10, -v10, v10, s2 :: v_dual_cndmask_b32 v5, -v5, v5, s2
	ds_bpermute_b32 v2, v21, v14
	ds_bpermute_b32 v3, v21, v15
	;; [unrolled: 1-line block ×4, first 2 shown]
	v_dual_cndmask_b32 v4, -v16, v16, s2 :: v_dual_lshlrev_b32 v22, 2, v17
	v_dual_cndmask_b32 v15, -v15, v15, s2 :: v_dual_bitop2_b32 v23, 2, v0 bitop3:0x40
	v_dual_cndmask_b32 v14, -v14, v14, s2 :: v_dual_bitop2_b32 v24, 4, v20 bitop3:0x14
	s_wait_dscnt 0x6
	v_pk_add_f32 v[6:7], v[10:11], v[6:7]
	v_dual_cndmask_b32 v17, -v19, v19, s2 :: v_dual_cndmask_b32 v16, -v18, v18, s2
	s_wait_dscnt 0x4
	v_pk_add_f32 v[4:5], v[4:5], v[8:9]
	v_cmp_gt_i32_e64 s3, 32, v24
	ds_bpermute_b32 v8, v22, v6
	ds_bpermute_b32 v9, v22, v7
	v_cmp_eq_u32_e64 s1, 0, v23
	ds_bpermute_b32 v10, v22, v4
	ds_bpermute_b32 v11, v22, v5
	v_cndmask_b32_e64 v18, v20, v24, s3
	s_wait_dscnt 0x6
	v_pk_add_f32 v[2:3], v[14:15], v[2:3]
	v_cndmask_b32_e64 v7, -v7, v7, s1
	s_wait_dscnt 0x4
	v_pk_add_f32 v[12:13], v[16:17], v[12:13]
	v_dual_cndmask_b32 v6, -v6, v6, s1 :: v_dual_cndmask_b32 v5, -v5, v5, s1
	ds_bpermute_b32 v14, v22, v2
	ds_bpermute_b32 v15, v22, v3
	;; [unrolled: 1-line block ×4, first 2 shown]
	v_dual_lshlrev_b32 v18, 2, v18 :: v_dual_cndmask_b32 v4, -v4, v4, s1
	v_dual_cndmask_b32 v3, -v3, v3, s1 :: v_dual_bitop2_b32 v19, 4, v0 bitop3:0x40
	v_cndmask_b32_e64 v2, -v2, v2, s1
	s_barrier_wait -1
	s_wait_dscnt 0x6
	v_pk_add_f32 v[6:7], v[6:7], v[8:9]
	v_cmp_eq_u32_e64 s3, 0, v19
	v_xor_b32_e32 v19, 8, v20
	s_wait_dscnt 0x4
	v_pk_add_f32 v[4:5], v[4:5], v[10:11]
	v_dual_cndmask_b32 v11, -v13, v13, s1 :: v_dual_cndmask_b32 v10, -v12, v12, s1
	ds_bpermute_b32 v8, v18, v6
	ds_bpermute_b32 v9, v18, v7
	v_cndmask_b32_e64 v7, -v7, v7, s3
	ds_bpermute_b32 v12, v18, v4
	ds_bpermute_b32 v13, v18, v5
	s_wait_dscnt 0x6
	v_pk_add_f32 v[2:3], v[2:3], v[14:15]
	v_cndmask_b32_e64 v6, -v6, v6, s3
	s_wait_dscnt 0x4
	v_pk_add_f32 v[10:11], v[10:11], v[16:17]
	v_cmp_gt_i32_e64 s4, 32, v19
	v_cndmask_b32_e64 v5, -v5, v5, s3
	ds_bpermute_b32 v14, v18, v2
	ds_bpermute_b32 v15, v18, v3
	;; [unrolled: 1-line block ×4, first 2 shown]
	v_cndmask_b32_e64 v18, v20, v19, s4
	v_cndmask_b32_e64 v4, -v4, v4, s3
	v_dual_cndmask_b32 v3, -v3, v3, s3 :: v_dual_bitop2_b32 v19, 8, v0 bitop3:0x40
	v_dual_cndmask_b32 v2, -v2, v2, s3 :: v_dual_bitop2_b32 v23, 16, v20 bitop3:0x14
	s_delay_alu instid0(VALU_DEP_4)
	v_lshlrev_b32_e32 v18, 2, v18
	s_wait_dscnt 0x6
	v_pk_add_f32 v[6:7], v[6:7], v[8:9]
	v_dual_cndmask_b32 v11, -v11, v11, s3 :: v_dual_cndmask_b32 v10, -v10, v10, s3
	s_wait_dscnt 0x4
	v_pk_add_f32 v[4:5], v[4:5], v[12:13]
	v_cmp_gt_i32_e64 s3, 32, v23
	ds_bpermute_b32 v8, v18, v6
	ds_bpermute_b32 v9, v18, v7
	v_lshrrev_b32_e32 v24, 2, v0
	ds_bpermute_b32 v12, v18, v4
	ds_bpermute_b32 v13, v18, v5
	s_wait_dscnt 0x6
	v_pk_add_f32 v[2:3], v[2:3], v[14:15]
	v_cndmask_b32_e64 v20, v20, v23, s3
	s_wait_dscnt 0x4
	v_pk_add_f32 v[10:11], v[10:11], v[16:17]
	v_cmp_eq_u32_e64 s3, 0, v19
	v_and_b32_e32 v23, 3, v0
	ds_bpermute_b32 v14, v18, v2
	ds_bpermute_b32 v15, v18, v3
	;; [unrolled: 1-line block ×4, first 2 shown]
	v_and_b32_e32 v18, 16, v0
	v_dual_lshlrev_b32 v19, 2, v20 :: v_dual_cndmask_b32 v7, -v7, v7, s3
	v_dual_lshrrev_b32 v20, 5, v0 :: v_dual_cndmask_b32 v6, -v6, v6, s3
	v_dual_cndmask_b32 v5, -v5, v5, s3 :: v_dual_cndmask_b32 v4, -v4, v4, s3
	v_dual_cndmask_b32 v3, -v3, v3, s3 :: v_dual_cndmask_b32 v2, -v2, v2, s3
	s_wait_dscnt 0x6
	s_delay_alu instid0(VALU_DEP_3)
	v_pk_add_f32 v[6:7], v[6:7], v[8:9]
	v_dual_cndmask_b32 v9, -v11, v11, s3 :: v_dual_cndmask_b32 v8, -v10, v10, s3
	s_wait_dscnt 0x4
	v_pk_add_f32 v[4:5], v[4:5], v[12:13]
	v_cmp_eq_u32_e64 s3, 0, v18
	ds_bpermute_b32 v10, v19, v6
	ds_bpermute_b32 v11, v19, v7
	s_wait_dscnt 0x0
	v_pk_add_f32 v[2:3], v[2:3], v[14:15]
	ds_bpermute_b32 v12, v19, v4
	v_pk_add_f32 v[8:9], v[8:9], v[16:17]
	ds_bpermute_b32 v13, v19, v5
	v_dual_cndmask_b32 v7, -v7, v7, s3 :: v_dual_cndmask_b32 v6, -v6, v6, s3
	ds_bpermute_b32 v14, v19, v2
	ds_bpermute_b32 v15, v19, v3
	;; [unrolled: 1-line block ×4, first 2 shown]
	v_dual_lshlrev_b32 v20, 5, v23 :: v_dual_bitop2_b32 v19, v20, v0 bitop3:0x14
	v_dual_cndmask_b32 v5, -v5, v5, s3 :: v_dual_cndmask_b32 v4, -v4, v4, s3
	v_cndmask_b32_e64 v18, -v2, v2, s3
	s_delay_alu instid0(VALU_DEP_3) | instskip(NEXT) | instid1(VALU_DEP_4)
	v_lshl_add_u32 v25, v19, 4, 0
	v_bitop3_b32 v20, v20, v23, v24 bitop3:0x36
	v_dual_cndmask_b32 v19, -v3, v3, s3 :: v_dual_cndmask_b32 v9, -v9, v9, s3
	v_cndmask_b32_e64 v8, -v8, v8, s3
	v_pk_add_f32 v[2:3], v[6:7], v[10:11]
	s_wait_kmcnt 0x0
	s_mov_b32 s9, s8
	s_wait_dscnt 0x4
	v_pk_add_f32 v[4:5], v[4:5], v[12:13]
	s_wait_dscnt 0x2
	v_pk_add_f32 v[6:7], v[18:19], v[14:15]
	v_lshl_add_u32 v18, v20, 4, 0
	s_wait_dscnt 0x0
	v_pk_add_f32 v[8:9], v[8:9], v[16:17]
	ds_store_b128 v25, v[2:5]
	ds_store_b128 v25, v[6:9] offset:2048
	s_wait_dscnt 0x0
	s_barrier_signal -1
	s_barrier_wait -1
	ds_load_b128 v[2:5], v18
	ds_load_b128 v[6:9], v18 offset:2048
	s_wait_dscnt 0x0
	s_barrier_signal -1
	s_barrier_wait -1
	ds_bpermute_b32 v10, v21, v2
	ds_bpermute_b32 v11, v21, v3
	;; [unrolled: 1-line block ×8, first 2 shown]
	v_dual_cndmask_b32 v3, -v3, v3, s2 :: v_dual_cndmask_b32 v2, -v2, v2, s2
	v_dual_cndmask_b32 v5, -v5, v5, s2 :: v_dual_cndmask_b32 v4, -v4, v4, s2
	v_dual_cndmask_b32 v7, -v7, v7, s2 :: v_dual_cndmask_b32 v6, -v6, v6, s2
	v_dual_cndmask_b32 v9, -v9, v9, s2 :: v_dual_cndmask_b32 v8, -v8, v8, s2
	s_mul_u64 s[2:3], s[6:7], s[12:13]
	s_delay_alu instid0(SALU_CYCLE_1) | instskip(NEXT) | instid1(SALU_CYCLE_1)
	s_lshl_b64 s[2:3], s[2:3], 2
	s_add_nc_u64 s[2:3], s[10:11], s[2:3]
	s_wait_dscnt 0x6
	v_pk_add_f32 v[2:3], v[2:3], v[10:11]
	s_wait_dscnt 0x4
	v_pk_add_f32 v[4:5], v[4:5], v[12:13]
	s_wait_dscnt 0x2
	v_pk_add_f32 v[6:7], v[6:7], v[14:15]
	ds_bpermute_b32 v10, v22, v2
	s_wait_dscnt 0x1
	v_pk_add_f32 v[8:9], v[8:9], v[16:17]
	ds_bpermute_b32 v11, v22, v3
	ds_bpermute_b32 v12, v22, v4
	;; [unrolled: 1-line block ×7, first 2 shown]
	v_dual_cndmask_b32 v3, -v3, v3, s1 :: v_dual_cndmask_b32 v2, -v2, v2, s1
	v_dual_cndmask_b32 v5, -v5, v5, s1 :: v_dual_cndmask_b32 v4, -v4, v4, s1
	;; [unrolled: 1-line block ×4, first 2 shown]
	s_wait_dscnt 0x6
	v_pk_add_f32 v[2:3], v[2:3], v[10:11]
	s_wait_dscnt 0x4
	v_pk_add_f32 v[4:5], v[4:5], v[12:13]
	;; [unrolled: 2-line block ×4, first 2 shown]
	ds_store_b128 v18, v[2:5]
	ds_store_b128 v18, v[6:9] offset:2048
	s_wait_dscnt 0x0
	s_barrier_signal -1
	s_barrier_wait -1
	ds_load_b128 v[2:5], v25
	ds_load_b128 v[6:9], v25 offset:2048
	s_and_saveexec_b32 s1, vcc_lo
	s_cbranch_execnz .LBB7_7
; %bb.5:
	s_or_b32 exec_lo, exec_lo, s1
	s_and_saveexec_b32 s1, s0
	s_cbranch_execnz .LBB7_8
.LBB7_6:
	s_endpgm
.LBB7_7:
	v_mov_b64_e32 v[12:13], s[8:9]
	s_wait_dscnt 0x0
	v_pk_add_f32 v[10:11], v[2:3], v[6:7]
	v_pk_add_f32 v[14:15], v[4:5], v[8:9]
	s_delay_alu instid0(VALU_DEP_2) | instskip(NEXT) | instid1(VALU_DEP_2)
	v_pk_mul_f32 v[10:11], v[12:13], v[10:11]
	v_pk_mul_f32 v[12:13], v[12:13], v[14:15]
	global_store_b128 v0, v[10:13], s[2:3] scale_offset
	s_wait_xcnt 0x0
	s_or_b32 exec_lo, exec_lo, s1
	s_and_saveexec_b32 s1, s0
	s_cbranch_execz .LBB7_6
.LBB7_8:
	s_wait_dscnt 0x0
	v_pk_add_f32 v[2:3], v[2:3], v[6:7] neg_lo:[0,1] neg_hi:[0,1]
	v_mov_b64_e32 v[6:7], s[8:9]
	v_pk_add_f32 v[4:5], v[4:5], v[8:9] neg_lo:[0,1] neg_hi:[0,1]
	s_delay_alu instid0(VALU_DEP_2) | instskip(NEXT) | instid1(VALU_DEP_2)
	v_pk_mul_f32 v[2:3], v[6:7], v[2:3]
	v_pk_mul_f32 v[4:5], v[6:7], v[4:5]
	global_store_b128 v1, v[2:5], s[2:3] scale_offset
	s_endpgm
	.section	.rodata,"a",@progbits
	.p2align	6, 0x0
	.amdhsa_kernel _Z30fast_hadamard_transform_kernelI37fast_hadamard_transform_kernel_traitsILi128ELi10EfEEv18HadamardParamsBase
		.amdhsa_group_segment_fixed_size 0
		.amdhsa_private_segment_fixed_size 0
		.amdhsa_kernarg_size 312
		.amdhsa_user_sgpr_count 2
		.amdhsa_user_sgpr_dispatch_ptr 0
		.amdhsa_user_sgpr_queue_ptr 0
		.amdhsa_user_sgpr_kernarg_segment_ptr 1
		.amdhsa_user_sgpr_dispatch_id 0
		.amdhsa_user_sgpr_kernarg_preload_length 0
		.amdhsa_user_sgpr_kernarg_preload_offset 0
		.amdhsa_user_sgpr_private_segment_size 0
		.amdhsa_wavefront_size32 1
		.amdhsa_uses_dynamic_stack 0
		.amdhsa_enable_private_segment 0
		.amdhsa_system_sgpr_workgroup_id_x 1
		.amdhsa_system_sgpr_workgroup_id_y 0
		.amdhsa_system_sgpr_workgroup_id_z 0
		.amdhsa_system_sgpr_workgroup_info 0
		.amdhsa_system_vgpr_workitem_id 0
		.amdhsa_next_free_vgpr 26
		.amdhsa_next_free_sgpr 16
		.amdhsa_named_barrier_count 0
		.amdhsa_reserve_vcc 1
		.amdhsa_float_round_mode_32 0
		.amdhsa_float_round_mode_16_64 0
		.amdhsa_float_denorm_mode_32 3
		.amdhsa_float_denorm_mode_16_64 3
		.amdhsa_fp16_overflow 0
		.amdhsa_memory_ordered 1
		.amdhsa_forward_progress 1
		.amdhsa_inst_pref_size 17
		.amdhsa_round_robin_scheduling 0
		.amdhsa_exception_fp_ieee_invalid_op 0
		.amdhsa_exception_fp_denorm_src 0
		.amdhsa_exception_fp_ieee_div_zero 0
		.amdhsa_exception_fp_ieee_overflow 0
		.amdhsa_exception_fp_ieee_underflow 0
		.amdhsa_exception_fp_ieee_inexact 0
		.amdhsa_exception_int_div_zero 0
	.end_amdhsa_kernel
	.section	.text._Z30fast_hadamard_transform_kernelI37fast_hadamard_transform_kernel_traitsILi128ELi10EfEEv18HadamardParamsBase,"axG",@progbits,_Z30fast_hadamard_transform_kernelI37fast_hadamard_transform_kernel_traitsILi128ELi10EfEEv18HadamardParamsBase,comdat
.Lfunc_end7:
	.size	_Z30fast_hadamard_transform_kernelI37fast_hadamard_transform_kernel_traitsILi128ELi10EfEEv18HadamardParamsBase, .Lfunc_end7-_Z30fast_hadamard_transform_kernelI37fast_hadamard_transform_kernel_traitsILi128ELi10EfEEv18HadamardParamsBase
                                        ; -- End function
	.set _Z30fast_hadamard_transform_kernelI37fast_hadamard_transform_kernel_traitsILi128ELi10EfEEv18HadamardParamsBase.num_vgpr, 26
	.set _Z30fast_hadamard_transform_kernelI37fast_hadamard_transform_kernel_traitsILi128ELi10EfEEv18HadamardParamsBase.num_agpr, 0
	.set _Z30fast_hadamard_transform_kernelI37fast_hadamard_transform_kernel_traitsILi128ELi10EfEEv18HadamardParamsBase.numbered_sgpr, 16
	.set _Z30fast_hadamard_transform_kernelI37fast_hadamard_transform_kernel_traitsILi128ELi10EfEEv18HadamardParamsBase.num_named_barrier, 0
	.set _Z30fast_hadamard_transform_kernelI37fast_hadamard_transform_kernel_traitsILi128ELi10EfEEv18HadamardParamsBase.private_seg_size, 0
	.set _Z30fast_hadamard_transform_kernelI37fast_hadamard_transform_kernel_traitsILi128ELi10EfEEv18HadamardParamsBase.uses_vcc, 1
	.set _Z30fast_hadamard_transform_kernelI37fast_hadamard_transform_kernel_traitsILi128ELi10EfEEv18HadamardParamsBase.uses_flat_scratch, 0
	.set _Z30fast_hadamard_transform_kernelI37fast_hadamard_transform_kernel_traitsILi128ELi10EfEEv18HadamardParamsBase.has_dyn_sized_stack, 0
	.set _Z30fast_hadamard_transform_kernelI37fast_hadamard_transform_kernel_traitsILi128ELi10EfEEv18HadamardParamsBase.has_recursion, 0
	.set _Z30fast_hadamard_transform_kernelI37fast_hadamard_transform_kernel_traitsILi128ELi10EfEEv18HadamardParamsBase.has_indirect_call, 0
	.section	.AMDGPU.csdata,"",@progbits
; Kernel info:
; codeLenInByte = 2072
; TotalNumSgprs: 18
; NumVgprs: 26
; ScratchSize: 0
; MemoryBound: 0
; FloatMode: 240
; IeeeMode: 1
; LDSByteSize: 0 bytes/workgroup (compile time only)
; SGPRBlocks: 0
; VGPRBlocks: 1
; NumSGPRsForWavesPerEU: 18
; NumVGPRsForWavesPerEU: 26
; NamedBarCnt: 0
; Occupancy: 16
; WaveLimiterHint : 0
; COMPUTE_PGM_RSRC2:SCRATCH_EN: 0
; COMPUTE_PGM_RSRC2:USER_SGPR: 2
; COMPUTE_PGM_RSRC2:TRAP_HANDLER: 0
; COMPUTE_PGM_RSRC2:TGID_X_EN: 1
; COMPUTE_PGM_RSRC2:TGID_Y_EN: 0
; COMPUTE_PGM_RSRC2:TGID_Z_EN: 0
; COMPUTE_PGM_RSRC2:TIDIG_COMP_CNT: 0
	.section	.text._Z30fast_hadamard_transform_kernelI37fast_hadamard_transform_kernel_traitsILi256ELi11EfEEv18HadamardParamsBase,"axG",@progbits,_Z30fast_hadamard_transform_kernelI37fast_hadamard_transform_kernel_traitsILi256ELi11EfEEv18HadamardParamsBase,comdat
	.protected	_Z30fast_hadamard_transform_kernelI37fast_hadamard_transform_kernel_traitsILi256ELi11EfEEv18HadamardParamsBase ; -- Begin function _Z30fast_hadamard_transform_kernelI37fast_hadamard_transform_kernel_traitsILi256ELi11EfEEv18HadamardParamsBase
	.globl	_Z30fast_hadamard_transform_kernelI37fast_hadamard_transform_kernel_traitsILi256ELi11EfEEv18HadamardParamsBase
	.p2align	8
	.type	_Z30fast_hadamard_transform_kernelI37fast_hadamard_transform_kernel_traitsILi256ELi11EfEEv18HadamardParamsBase,@function
_Z30fast_hadamard_transform_kernelI37fast_hadamard_transform_kernel_traitsILi256ELi11EfEEv18HadamardParamsBase: ; @_Z30fast_hadamard_transform_kernelI37fast_hadamard_transform_kernel_traitsILi256ELi11EfEEv18HadamardParamsBase
; %bb.0:
	s_clause 0x3
	s_load_b128 s[4:7], s[0:1], 0x10
	s_load_b32 s14, s[0:1], 0x4
	s_load_b128 s[8:11], s[0:1], 0x28
	s_load_b32 s15, s[0:1], 0x44
	s_bfe_u32 s3, ttmp6, 0x4000c
	s_and_b32 s2, ttmp6, 15
	s_add_co_i32 s3, s3, 1
	s_getreg_b32 s12, hwreg(HW_REG_IB_STS2, 6, 4)
	s_mul_i32 s3, ttmp9, s3
	v_dual_mov_b32 v2, 0 :: v_dual_lshlrev_b32 v1, 2, v0
	s_add_co_i32 s2, s2, s3
	s_cmp_eq_u32 s12, 0
	v_dual_mov_b32 v10, 0 :: v_dual_mov_b32 v11, 0
	s_cselect_b32 s12, ttmp9, s2
	v_dual_mov_b32 v6, 0 :: v_dual_mov_b32 v7, 0
	s_ashr_i32 s13, s12, 31
	s_wait_kmcnt 0x0
	s_mul_u64 s[2:3], s[4:5], s[12:13]
	v_cmp_gt_u32_e32 vcc_lo, s14, v1
	s_lshl_b64 s[2:3], s[2:3], 2
	s_delay_alu instid0(SALU_CYCLE_1)
	s_add_nc_u64 s[2:3], s[8:9], s[2:3]
	s_and_saveexec_b32 s4, vcc_lo
	s_cbranch_execz .LBB8_2
; %bb.1:
	global_load_b128 v[6:9], v0, s[2:3] scale_offset
	s_wait_loadcnt 0x0
	v_dual_mov_b32 v10, v8 :: v_dual_mov_b32 v11, v6
	v_mov_b32_e32 v6, v9
.LBB8_2:
	s_or_b32 exec_lo, exec_lo, s4
	s_load_b32 s8, s[0:1], 0x20
	s_wait_xcnt 0x0
	s_and_b32 s0, 0xffff, s15
	s_delay_alu instid0(SALU_CYCLE_1) | instskip(NEXT) | instid1(VALU_DEP_1)
	v_dual_mov_b32 v5, 0 :: v_dual_add_nc_u32 v1, s0, v0
	v_dual_mov_b32 v4, 0 :: v_dual_lshlrev_b32 v3, 2, v1
	s_delay_alu instid0(VALU_DEP_1)
	v_cmp_gt_u32_e64 s0, s14, v3
	v_mov_b32_e32 v3, 0
	s_and_saveexec_b32 s1, s0
	s_cbranch_execz .LBB8_4
; %bb.3:
	global_load_b128 v[2:5], v1, s[2:3] scale_offset
.LBB8_4:
	s_wait_xcnt 0x0
	s_or_b32 exec_lo, exec_lo, s1
	v_mbcnt_lo_u32_b32 v20, -1, 0
	s_wait_loadcnt 0x0
	v_mov_b32_e32 v12, v3
	v_pk_add_f32 v[8:9], v[10:11], v[6:7]
	v_pk_add_f32 v[6:7], v[10:11], v[6:7] neg_lo:[0,1] neg_hi:[0,1]
	v_dual_mov_b32 v11, v2 :: v_dual_mov_b32 v10, v5
	v_xor_b32_e32 v15, 1, v20
	v_pk_add_f32 v[12:13], v[2:3], v[12:13]
	s_barrier_signal -1
	s_delay_alu instid0(VALU_DEP_3) | instskip(NEXT) | instid1(VALU_DEP_3)
	v_pk_add_f32 v[2:3], v[10:11], v[2:3] neg_lo:[0,1] neg_hi:[0,1]
	v_cmp_gt_i32_e64 s1, 32, v15
	v_mov_b32_e32 v14, v9
	v_pk_add_f32 v[18:19], v[4:5], v[10:11]
	v_pk_add_f32 v[4:5], v[4:5], v[10:11] neg_lo:[0,1] neg_hi:[0,1]
	v_mov_b32_e32 v16, v8
	v_dual_cndmask_b32 v13, v20, v15, s1 :: v_dual_mov_b32 v15, v6
	v_dual_mov_b32 v17, v7 :: v_dual_bitop2_b32 v2, 1, v0 bitop3:0x40
	s_delay_alu instid0(VALU_DEP_2) | instskip(SKIP_1) | instid1(VALU_DEP_3)
	v_dual_sub_f32 v5, v7, v6 :: v_dual_lshlrev_b32 v21, 2, v13
	v_mov_b32_e32 v13, v4
	v_pk_add_f32 v[10:11], v[16:17], v[14:15]
	v_dual_mov_b32 v19, v3 :: v_dual_bitop2_b32 v14, 2, v20 bitop3:0x14
	v_sub_f32_e32 v16, v9, v8
	v_cmp_eq_u32_e64 s2, 0, v2
	ds_bpermute_b32 v6, v21, v10
	v_cmp_gt_i32_e64 s1, 32, v14
	ds_bpermute_b32 v7, v21, v11
	ds_bpermute_b32 v8, v21, v16
	;; [unrolled: 1-line block ×3, first 2 shown]
	v_dual_cndmask_b32 v11, -v11, v11, s2 :: v_dual_cndmask_b32 v17, v20, v14, s1
	v_pk_add_f32 v[14:15], v[18:19], v[12:13]
	v_dual_sub_f32 v18, v12, v18 :: v_dual_sub_f32 v19, v3, v4
	v_dual_cndmask_b32 v10, -v10, v10, s2 :: v_dual_cndmask_b32 v5, -v5, v5, s2
	ds_bpermute_b32 v2, v21, v14
	ds_bpermute_b32 v3, v21, v15
	;; [unrolled: 1-line block ×4, first 2 shown]
	v_dual_cndmask_b32 v4, -v16, v16, s2 :: v_dual_lshlrev_b32 v22, 2, v17
	v_dual_cndmask_b32 v15, -v15, v15, s2 :: v_dual_bitop2_b32 v23, 2, v0 bitop3:0x40
	v_dual_cndmask_b32 v14, -v14, v14, s2 :: v_dual_bitop2_b32 v24, 4, v20 bitop3:0x14
	s_wait_dscnt 0x6
	v_pk_add_f32 v[6:7], v[10:11], v[6:7]
	v_dual_cndmask_b32 v17, -v19, v19, s2 :: v_dual_cndmask_b32 v16, -v18, v18, s2
	s_wait_dscnt 0x4
	v_pk_add_f32 v[4:5], v[4:5], v[8:9]
	v_cmp_gt_i32_e64 s3, 32, v24
	ds_bpermute_b32 v8, v22, v6
	ds_bpermute_b32 v9, v22, v7
	v_cmp_eq_u32_e64 s1, 0, v23
	ds_bpermute_b32 v10, v22, v4
	ds_bpermute_b32 v11, v22, v5
	v_cndmask_b32_e64 v18, v20, v24, s3
	s_wait_dscnt 0x6
	v_pk_add_f32 v[2:3], v[14:15], v[2:3]
	v_cndmask_b32_e64 v7, -v7, v7, s1
	s_wait_dscnt 0x4
	v_pk_add_f32 v[12:13], v[16:17], v[12:13]
	v_dual_cndmask_b32 v6, -v6, v6, s1 :: v_dual_cndmask_b32 v5, -v5, v5, s1
	ds_bpermute_b32 v14, v22, v2
	ds_bpermute_b32 v15, v22, v3
	;; [unrolled: 1-line block ×4, first 2 shown]
	v_dual_lshlrev_b32 v23, 2, v18 :: v_dual_cndmask_b32 v4, -v4, v4, s1
	v_dual_cndmask_b32 v3, -v3, v3, s1 :: v_dual_bitop2_b32 v18, 4, v0 bitop3:0x40
	v_cndmask_b32_e64 v2, -v2, v2, s1
	s_barrier_wait -1
	s_wait_dscnt 0x6
	v_pk_add_f32 v[6:7], v[6:7], v[8:9]
	v_cmp_eq_u32_e64 s3, 0, v18
	v_xor_b32_e32 v18, 8, v20
	s_wait_dscnt 0x4
	v_pk_add_f32 v[4:5], v[4:5], v[10:11]
	v_dual_cndmask_b32 v11, -v13, v13, s1 :: v_dual_cndmask_b32 v10, -v12, v12, s1
	ds_bpermute_b32 v8, v23, v6
	ds_bpermute_b32 v9, v23, v7
	v_cndmask_b32_e64 v7, -v7, v7, s3
	ds_bpermute_b32 v12, v23, v4
	ds_bpermute_b32 v13, v23, v5
	s_wait_dscnt 0x6
	v_pk_add_f32 v[2:3], v[2:3], v[14:15]
	v_cndmask_b32_e64 v6, -v6, v6, s3
	s_wait_dscnt 0x4
	v_pk_add_f32 v[10:11], v[10:11], v[16:17]
	v_cmp_gt_i32_e64 s4, 32, v18
	v_cndmask_b32_e64 v5, -v5, v5, s3
	ds_bpermute_b32 v14, v23, v2
	ds_bpermute_b32 v15, v23, v3
	;; [unrolled: 1-line block ×4, first 2 shown]
	v_cndmask_b32_e64 v18, v20, v18, s4
	v_cndmask_b32_e64 v4, -v4, v4, s3
	v_dual_cndmask_b32 v3, -v3, v3, s3 :: v_dual_bitop2_b32 v19, 8, v0 bitop3:0x40
	v_dual_cndmask_b32 v2, -v2, v2, s3 :: v_dual_bitop2_b32 v24, 16, v20 bitop3:0x14
	s_delay_alu instid0(VALU_DEP_4)
	v_lshlrev_b32_e32 v18, 2, v18
	s_wait_dscnt 0x6
	v_pk_add_f32 v[6:7], v[6:7], v[8:9]
	v_dual_cndmask_b32 v11, -v11, v11, s3 :: v_dual_cndmask_b32 v10, -v10, v10, s3
	s_wait_dscnt 0x4
	v_pk_add_f32 v[4:5], v[4:5], v[12:13]
	v_cmp_gt_i32_e64 s4, 32, v24
	ds_bpermute_b32 v8, v18, v6
	ds_bpermute_b32 v9, v18, v7
	v_lshrrev_b32_e32 v25, 3, v0
	ds_bpermute_b32 v12, v18, v4
	ds_bpermute_b32 v13, v18, v5
	s_wait_dscnt 0x6
	v_pk_add_f32 v[2:3], v[2:3], v[14:15]
	v_cndmask_b32_e64 v20, v20, v24, s4
	s_wait_dscnt 0x4
	v_pk_add_f32 v[10:11], v[10:11], v[16:17]
	v_cmp_eq_u32_e64 s4, 0, v19
	v_and_b32_e32 v24, 7, v0
	ds_bpermute_b32 v14, v18, v2
	ds_bpermute_b32 v15, v18, v3
	;; [unrolled: 1-line block ×4, first 2 shown]
	v_dual_cndmask_b32 v7, -v7, v7, s4 :: v_dual_lshlrev_b32 v19, 2, v20
	v_dual_cndmask_b32 v6, -v6, v6, s4 :: v_dual_cndmask_b32 v5, -v5, v5, s4
	v_dual_cndmask_b32 v4, -v4, v4, s4 :: v_dual_cndmask_b32 v3, -v3, v3, s4
	v_cndmask_b32_e64 v2, -v2, v2, s4
	s_wait_dscnt 0x6
	s_delay_alu instid0(VALU_DEP_3)
	v_pk_add_f32 v[6:7], v[6:7], v[8:9]
	v_dual_cndmask_b32 v9, -v11, v11, s4 :: v_dual_cndmask_b32 v8, -v10, v10, s4
	s_wait_dscnt 0x4
	v_pk_add_f32 v[4:5], v[4:5], v[12:13]
	v_dual_lshrrev_b32 v20, 5, v0 :: v_dual_bitop2_b32 v18, 16, v0 bitop3:0x40
	ds_bpermute_b32 v10, v19, v6
	ds_bpermute_b32 v11, v19, v7
	;; [unrolled: 1-line block ×4, first 2 shown]
	s_wait_dscnt 0x6
	v_pk_add_f32 v[2:3], v[2:3], v[14:15]
	v_cmp_eq_u32_e64 s4, 0, v18
	s_wait_dscnt 0x4
	v_pk_add_f32 v[8:9], v[8:9], v[16:17]
	s_wait_dscnt 0x0
	s_wait_kmcnt 0x0
	s_mov_b32 s9, s8
	ds_bpermute_b32 v14, v19, v2
	ds_bpermute_b32 v15, v19, v3
	;; [unrolled: 1-line block ×4, first 2 shown]
	v_dual_cndmask_b32 v7, -v7, v7, s4 :: v_dual_bitop2_b32 v19, v20, v0 bitop3:0x14
	v_dual_lshlrev_b32 v20, 5, v24 :: v_dual_cndmask_b32 v6, -v6, v6, s4
	v_dual_cndmask_b32 v5, -v5, v5, s4 :: v_dual_cndmask_b32 v4, -v4, v4, s4
	s_delay_alu instid0(VALU_DEP_3) | instskip(NEXT) | instid1(VALU_DEP_3)
	v_lshl_add_u32 v26, v19, 4, 0
	v_bitop3_b32 v20, v20, v24, v25 bitop3:0x36
	v_dual_cndmask_b32 v19, -v3, v3, s4 :: v_dual_cndmask_b32 v18, -v2, v2, s4
	v_dual_cndmask_b32 v9, -v9, v9, s4 :: v_dual_cndmask_b32 v8, -v8, v8, s4
	v_pk_add_f32 v[2:3], v[6:7], v[10:11]
	v_pk_add_f32 v[4:5], v[4:5], v[12:13]
	s_wait_dscnt 0x2
	v_pk_add_f32 v[6:7], v[18:19], v[14:15]
	v_lshl_add_u32 v18, v20, 4, 0
	s_wait_dscnt 0x0
	v_pk_add_f32 v[8:9], v[8:9], v[16:17]
	ds_store_b128 v26, v[2:5]
	ds_store_b128 v26, v[6:9] offset:4096
	s_wait_dscnt 0x0
	s_barrier_signal -1
	s_barrier_wait -1
	ds_load_b128 v[2:5], v18
	ds_load_b128 v[6:9], v18 offset:4096
	s_wait_dscnt 0x0
	s_barrier_signal -1
	s_barrier_wait -1
	ds_bpermute_b32 v10, v21, v2
	ds_bpermute_b32 v11, v21, v3
	;; [unrolled: 1-line block ×8, first 2 shown]
	v_dual_cndmask_b32 v3, -v3, v3, s2 :: v_dual_cndmask_b32 v2, -v2, v2, s2
	v_dual_cndmask_b32 v5, -v5, v5, s2 :: v_dual_cndmask_b32 v4, -v4, v4, s2
	;; [unrolled: 1-line block ×4, first 2 shown]
	s_wait_dscnt 0x6
	v_pk_add_f32 v[2:3], v[2:3], v[10:11]
	s_wait_dscnt 0x4
	v_pk_add_f32 v[4:5], v[4:5], v[12:13]
	;; [unrolled: 2-line block ×3, first 2 shown]
	ds_bpermute_b32 v10, v22, v2
	s_wait_dscnt 0x1
	v_pk_add_f32 v[8:9], v[8:9], v[16:17]
	ds_bpermute_b32 v11, v22, v3
	ds_bpermute_b32 v12, v22, v4
	;; [unrolled: 1-line block ×7, first 2 shown]
	v_dual_cndmask_b32 v3, -v3, v3, s1 :: v_dual_cndmask_b32 v2, -v2, v2, s1
	v_dual_cndmask_b32 v5, -v5, v5, s1 :: v_dual_cndmask_b32 v4, -v4, v4, s1
	;; [unrolled: 1-line block ×4, first 2 shown]
	s_wait_dscnt 0x6
	v_pk_add_f32 v[2:3], v[2:3], v[10:11]
	s_wait_dscnt 0x4
	v_pk_add_f32 v[4:5], v[4:5], v[12:13]
	;; [unrolled: 2-line block ×4, first 2 shown]
	ds_bpermute_b32 v10, v23, v2
	ds_bpermute_b32 v11, v23, v3
	;; [unrolled: 1-line block ×8, first 2 shown]
	v_dual_cndmask_b32 v3, -v3, v3, s3 :: v_dual_cndmask_b32 v2, -v2, v2, s3
	v_dual_cndmask_b32 v5, -v5, v5, s3 :: v_dual_cndmask_b32 v4, -v4, v4, s3
	;; [unrolled: 1-line block ×4, first 2 shown]
	s_mul_u64 s[2:3], s[6:7], s[12:13]
	s_delay_alu instid0(SALU_CYCLE_1) | instskip(NEXT) | instid1(SALU_CYCLE_1)
	s_lshl_b64 s[2:3], s[2:3], 2
	s_add_nc_u64 s[2:3], s[10:11], s[2:3]
	s_wait_dscnt 0x6
	v_pk_add_f32 v[2:3], v[2:3], v[10:11]
	s_wait_dscnt 0x4
	v_pk_add_f32 v[4:5], v[4:5], v[12:13]
	;; [unrolled: 2-line block ×4, first 2 shown]
	ds_store_b128 v18, v[2:5]
	ds_store_b128 v18, v[6:9] offset:4096
	s_wait_dscnt 0x0
	s_barrier_signal -1
	s_barrier_wait -1
	ds_load_b128 v[2:5], v26
	ds_load_b128 v[6:9], v26 offset:4096
	s_and_saveexec_b32 s1, vcc_lo
	s_cbranch_execnz .LBB8_7
; %bb.5:
	s_or_b32 exec_lo, exec_lo, s1
	s_and_saveexec_b32 s1, s0
	s_cbranch_execnz .LBB8_8
.LBB8_6:
	s_endpgm
.LBB8_7:
	v_mov_b64_e32 v[12:13], s[8:9]
	s_wait_dscnt 0x0
	v_pk_add_f32 v[10:11], v[2:3], v[6:7]
	v_pk_add_f32 v[14:15], v[4:5], v[8:9]
	s_delay_alu instid0(VALU_DEP_2) | instskip(NEXT) | instid1(VALU_DEP_2)
	v_pk_mul_f32 v[10:11], v[12:13], v[10:11]
	v_pk_mul_f32 v[12:13], v[12:13], v[14:15]
	global_store_b128 v0, v[10:13], s[2:3] scale_offset
	s_wait_xcnt 0x0
	s_or_b32 exec_lo, exec_lo, s1
	s_and_saveexec_b32 s1, s0
	s_cbranch_execz .LBB8_6
.LBB8_8:
	s_wait_dscnt 0x0
	v_pk_add_f32 v[2:3], v[2:3], v[6:7] neg_lo:[0,1] neg_hi:[0,1]
	v_mov_b64_e32 v[6:7], s[8:9]
	v_pk_add_f32 v[4:5], v[4:5], v[8:9] neg_lo:[0,1] neg_hi:[0,1]
	s_delay_alu instid0(VALU_DEP_2) | instskip(NEXT) | instid1(VALU_DEP_2)
	v_pk_mul_f32 v[2:3], v[6:7], v[2:3]
	v_pk_mul_f32 v[4:5], v[6:7], v[4:5]
	global_store_b128 v1, v[2:5], s[2:3] scale_offset
	s_endpgm
	.section	.rodata,"a",@progbits
	.p2align	6, 0x0
	.amdhsa_kernel _Z30fast_hadamard_transform_kernelI37fast_hadamard_transform_kernel_traitsILi256ELi11EfEEv18HadamardParamsBase
		.amdhsa_group_segment_fixed_size 0
		.amdhsa_private_segment_fixed_size 0
		.amdhsa_kernarg_size 312
		.amdhsa_user_sgpr_count 2
		.amdhsa_user_sgpr_dispatch_ptr 0
		.amdhsa_user_sgpr_queue_ptr 0
		.amdhsa_user_sgpr_kernarg_segment_ptr 1
		.amdhsa_user_sgpr_dispatch_id 0
		.amdhsa_user_sgpr_kernarg_preload_length 0
		.amdhsa_user_sgpr_kernarg_preload_offset 0
		.amdhsa_user_sgpr_private_segment_size 0
		.amdhsa_wavefront_size32 1
		.amdhsa_uses_dynamic_stack 0
		.amdhsa_enable_private_segment 0
		.amdhsa_system_sgpr_workgroup_id_x 1
		.amdhsa_system_sgpr_workgroup_id_y 0
		.amdhsa_system_sgpr_workgroup_id_z 0
		.amdhsa_system_sgpr_workgroup_info 0
		.amdhsa_system_vgpr_workitem_id 0
		.amdhsa_next_free_vgpr 27
		.amdhsa_next_free_sgpr 16
		.amdhsa_named_barrier_count 0
		.amdhsa_reserve_vcc 1
		.amdhsa_float_round_mode_32 0
		.amdhsa_float_round_mode_16_64 0
		.amdhsa_float_denorm_mode_32 3
		.amdhsa_float_denorm_mode_16_64 3
		.amdhsa_fp16_overflow 0
		.amdhsa_memory_ordered 1
		.amdhsa_forward_progress 1
		.amdhsa_inst_pref_size 18
		.amdhsa_round_robin_scheduling 0
		.amdhsa_exception_fp_ieee_invalid_op 0
		.amdhsa_exception_fp_denorm_src 0
		.amdhsa_exception_fp_ieee_div_zero 0
		.amdhsa_exception_fp_ieee_overflow 0
		.amdhsa_exception_fp_ieee_underflow 0
		.amdhsa_exception_fp_ieee_inexact 0
		.amdhsa_exception_int_div_zero 0
	.end_amdhsa_kernel
	.section	.text._Z30fast_hadamard_transform_kernelI37fast_hadamard_transform_kernel_traitsILi256ELi11EfEEv18HadamardParamsBase,"axG",@progbits,_Z30fast_hadamard_transform_kernelI37fast_hadamard_transform_kernel_traitsILi256ELi11EfEEv18HadamardParamsBase,comdat
.Lfunc_end8:
	.size	_Z30fast_hadamard_transform_kernelI37fast_hadamard_transform_kernel_traitsILi256ELi11EfEEv18HadamardParamsBase, .Lfunc_end8-_Z30fast_hadamard_transform_kernelI37fast_hadamard_transform_kernel_traitsILi256ELi11EfEEv18HadamardParamsBase
                                        ; -- End function
	.set _Z30fast_hadamard_transform_kernelI37fast_hadamard_transform_kernel_traitsILi256ELi11EfEEv18HadamardParamsBase.num_vgpr, 27
	.set _Z30fast_hadamard_transform_kernelI37fast_hadamard_transform_kernel_traitsILi256ELi11EfEEv18HadamardParamsBase.num_agpr, 0
	.set _Z30fast_hadamard_transform_kernelI37fast_hadamard_transform_kernel_traitsILi256ELi11EfEEv18HadamardParamsBase.numbered_sgpr, 16
	.set _Z30fast_hadamard_transform_kernelI37fast_hadamard_transform_kernel_traitsILi256ELi11EfEEv18HadamardParamsBase.num_named_barrier, 0
	.set _Z30fast_hadamard_transform_kernelI37fast_hadamard_transform_kernel_traitsILi256ELi11EfEEv18HadamardParamsBase.private_seg_size, 0
	.set _Z30fast_hadamard_transform_kernelI37fast_hadamard_transform_kernel_traitsILi256ELi11EfEEv18HadamardParamsBase.uses_vcc, 1
	.set _Z30fast_hadamard_transform_kernelI37fast_hadamard_transform_kernel_traitsILi256ELi11EfEEv18HadamardParamsBase.uses_flat_scratch, 0
	.set _Z30fast_hadamard_transform_kernelI37fast_hadamard_transform_kernel_traitsILi256ELi11EfEEv18HadamardParamsBase.has_dyn_sized_stack, 0
	.set _Z30fast_hadamard_transform_kernelI37fast_hadamard_transform_kernel_traitsILi256ELi11EfEEv18HadamardParamsBase.has_recursion, 0
	.set _Z30fast_hadamard_transform_kernelI37fast_hadamard_transform_kernel_traitsILi256ELi11EfEEv18HadamardParamsBase.has_indirect_call, 0
	.section	.AMDGPU.csdata,"",@progbits
; Kernel info:
; codeLenInByte = 2236
; TotalNumSgprs: 18
; NumVgprs: 27
; ScratchSize: 0
; MemoryBound: 0
; FloatMode: 240
; IeeeMode: 1
; LDSByteSize: 0 bytes/workgroup (compile time only)
; SGPRBlocks: 0
; VGPRBlocks: 1
; NumSGPRsForWavesPerEU: 18
; NumVGPRsForWavesPerEU: 27
; NamedBarCnt: 0
; Occupancy: 16
; WaveLimiterHint : 0
; COMPUTE_PGM_RSRC2:SCRATCH_EN: 0
; COMPUTE_PGM_RSRC2:USER_SGPR: 2
; COMPUTE_PGM_RSRC2:TRAP_HANDLER: 0
; COMPUTE_PGM_RSRC2:TGID_X_EN: 1
; COMPUTE_PGM_RSRC2:TGID_Y_EN: 0
; COMPUTE_PGM_RSRC2:TGID_Z_EN: 0
; COMPUTE_PGM_RSRC2:TIDIG_COMP_CNT: 0
	.section	.text._Z30fast_hadamard_transform_kernelI37fast_hadamard_transform_kernel_traitsILi256ELi12EfEEv18HadamardParamsBase,"axG",@progbits,_Z30fast_hadamard_transform_kernelI37fast_hadamard_transform_kernel_traitsILi256ELi12EfEEv18HadamardParamsBase,comdat
	.protected	_Z30fast_hadamard_transform_kernelI37fast_hadamard_transform_kernel_traitsILi256ELi12EfEEv18HadamardParamsBase ; -- Begin function _Z30fast_hadamard_transform_kernelI37fast_hadamard_transform_kernel_traitsILi256ELi12EfEEv18HadamardParamsBase
	.globl	_Z30fast_hadamard_transform_kernelI37fast_hadamard_transform_kernel_traitsILi256ELi12EfEEv18HadamardParamsBase
	.p2align	8
	.type	_Z30fast_hadamard_transform_kernelI37fast_hadamard_transform_kernel_traitsILi256ELi12EfEEv18HadamardParamsBase,@function
_Z30fast_hadamard_transform_kernelI37fast_hadamard_transform_kernel_traitsILi256ELi12EfEEv18HadamardParamsBase: ; @_Z30fast_hadamard_transform_kernelI37fast_hadamard_transform_kernel_traitsILi256ELi12EfEEv18HadamardParamsBase
; %bb.0:
	s_clause 0x3
	s_load_b128 s[8:11], s[0:1], 0x10
	s_load_b32 s6, s[0:1], 0x4
	s_load_b128 s[12:15], s[0:1], 0x28
	s_load_b32 s2, s[0:1], 0x44
	s_bfe_u32 s4, ttmp6, 0x4000c
	s_and_b32 s3, ttmp6, 15
	s_add_co_i32 s4, s4, 1
	s_getreg_b32 s5, hwreg(HW_REG_IB_STS2, 6, 4)
	s_mul_i32 s4, ttmp9, s4
	v_dual_mov_b32 v16, 0 :: v_dual_lshlrev_b32 v1, 2, v0
	s_add_co_i32 s3, s3, s4
	s_cmp_eq_u32 s5, 0
	v_dual_mov_b32 v18, 0 :: v_dual_mov_b32 v19, 0
	s_cselect_b32 s16, ttmp9, s3
	v_dual_mov_b32 v12, 0 :: v_dual_mov_b32 v13, 0
	s_ashr_i32 s17, s16, 31
	s_wait_kmcnt 0x0
	s_mul_u64 s[4:5], s[8:9], s[16:17]
	v_cmp_gt_u32_e32 vcc_lo, s6, v1
	s_lshl_b64 s[4:5], s[4:5], 2
	s_delay_alu instid0(SALU_CYCLE_1)
	s_add_nc_u64 s[4:5], s[12:13], s[4:5]
	s_and_saveexec_b32 s3, vcc_lo
	s_cbranch_execz .LBB9_2
; %bb.1:
	global_load_b128 v[12:15], v0, s[4:5] scale_offset
	s_wait_loadcnt 0x0
	v_dual_mov_b32 v18, v14 :: v_dual_mov_b32 v19, v12
	v_mov_b32_e32 v12, v15
.LBB9_2:
	s_or_b32 exec_lo, exec_lo, s3
	s_and_b32 s7, 0xffff, s2
	s_delay_alu instid0(SALU_CYCLE_1) | instskip(SKIP_1) | instid1(VALU_DEP_2)
	v_dual_mov_b32 v7, 0 :: v_dual_add_nc_u32 v26, s7, v0
	v_dual_mov_b32 v17, 0 :: v_dual_mov_b32 v6, 0
	v_lshlrev_b32_e32 v1, 2, v26
	s_delay_alu instid0(VALU_DEP_1)
	v_cmp_gt_u32_e64 s2, s6, v1
	s_and_saveexec_b32 s3, s2
	s_cbranch_execz .LBB9_4
; %bb.3:
	global_load_b128 v[6:9], v26, s[4:5] scale_offset
	s_wait_loadcnt 0x0
	v_dual_mov_b32 v16, v8 :: v_dual_mov_b32 v17, v6
	v_mov_b32_e32 v6, v9
.LBB9_4:
	s_or_b32 exec_lo, exec_lo, s3
	v_dual_mov_b32 v2, 0 :: v_dual_add_nc_u32 v27, s7, v26
	v_dual_mov_b32 v15, 0 :: v_dual_mov_b32 v8, 0
	s_delay_alu instid0(VALU_DEP_2) | instskip(SKIP_1) | instid1(VALU_DEP_2)
	v_dual_mov_b32 v9, 0 :: v_dual_lshlrev_b32 v1, 2, v27
	v_mov_b32_e32 v14, 0
	v_cmp_gt_u32_e64 s3, s6, v1
	s_and_saveexec_b32 s8, s3
	s_cbranch_execz .LBB9_6
; %bb.5:
	global_load_b128 v[8:11], v27, s[4:5] scale_offset
	s_wait_loadcnt 0x0
	v_dual_mov_b32 v14, v10 :: v_dual_mov_b32 v15, v8
	v_mov_b32_e32 v8, v11
.LBB9_6:
	s_or_b32 exec_lo, exec_lo, s8
	s_load_b32 s8, s[0:1], 0x20
	v_dual_mov_b32 v3, 0 :: v_dual_add_nc_u32 v28, s7, v27
	v_dual_mov_b32 v5, 0 :: v_dual_mov_b32 v4, 0
	s_delay_alu instid0(VALU_DEP_2) | instskip(SKIP_1) | instid1(VALU_DEP_1)
	v_lshlrev_b32_e32 v1, 2, v28
	s_wait_xcnt 0x0
	v_cmp_gt_u32_e64 s0, s6, v1
	s_and_saveexec_b32 s1, s0
	s_cbranch_execz .LBB9_8
; %bb.7:
	global_load_b128 v[2:5], v28, s[4:5] scale_offset
.LBB9_8:
	s_wait_xcnt 0x0
	s_or_b32 exec_lo, exec_lo, s1
	v_mbcnt_lo_u32_b32 v29, -1, 0
	v_pk_add_f32 v[10:11], v[18:19], v[12:13]
	v_pk_add_f32 v[12:13], v[18:19], v[12:13] neg_lo:[0,1] neg_hi:[0,1]
	s_wait_loadcnt 0x0
	s_barrier_signal -1
	s_delay_alu instid0(VALU_DEP_2) | instskip(NEXT) | instid1(VALU_DEP_2)
	v_dual_mov_b32 v18, v11 :: v_dual_bitop2_b32 v1, 1, v29 bitop3:0x14
	v_dual_mov_b32 v19, v12 :: v_dual_mov_b32 v20, v10
	v_xor_b32_e32 v24, 2, v29
	s_delay_alu instid0(VALU_DEP_3)
	v_cmp_gt_i32_e64 s1, 32, v1
	s_barrier_wait -1
	s_wait_kmcnt 0x0
	s_mov_b32 s9, s8
	v_dual_cndmask_b32 v1, v29, v1, s1 :: v_dual_bitop2_b32 v23, 1, v0 bitop3:0x40
	v_dual_mov_b32 v21, v13 :: v_dual_sub_f32 v22, v13, v12
	v_lshrrev_b32_e32 v32, 5, v0
	s_delay_alu instid0(VALU_DEP_3) | instskip(NEXT) | instid1(VALU_DEP_4)
	v_cmp_eq_u32_e64 s4, 0, v23
	v_dual_sub_f32 v1, v11, v10 :: v_dual_lshlrev_b32 v40, 2, v1
	s_delay_alu instid0(VALU_DEP_4)
	v_pk_add_f32 v[18:19], v[20:21], v[18:19]
	v_pk_add_f32 v[20:21], v[16:17], v[6:7]
	v_pk_add_f32 v[6:7], v[16:17], v[6:7] neg_lo:[0,1] neg_hi:[0,1]
	ds_bpermute_b32 v13, v40, v22
	ds_bpermute_b32 v12, v40, v1
	;; [unrolled: 1-line block ×4, first 2 shown]
	v_pk_add_f32 v[16:17], v[14:15], v[8:9]
	v_pk_add_f32 v[8:9], v[14:15], v[8:9] neg_lo:[0,1] neg_hi:[0,1]
	v_mov_b32_e32 v14, v3
	v_cmp_gt_i32_e64 s1, 32, v24
	v_dual_cndmask_b32 v19, -v19, v19, s4 :: v_dual_cndmask_b32 v18, -v18, v18, s4
	v_dual_mov_b32 v34, v20 :: v_dual_lshrrev_b32 v39, 3, v0
	s_delay_alu instid0(VALU_DEP_3) | instskip(SKIP_1) | instid1(VALU_DEP_2)
	v_dual_cndmask_b32 v15, v29, v24, s1 :: v_dual_cndmask_b32 v23, -v22, v22, s4
	v_dual_cndmask_b32 v22, -v1, v1, s4 :: v_dual_mov_b32 v1, v2
	v_dual_mov_b32 v33, v6 :: v_dual_lshlrev_b32 v41, 2, v15
	v_dual_mov_b32 v35, v7 :: v_dual_bitop2_b32 v15, 2, v0 bitop3:0x40
	s_wait_dscnt 0x2
	s_delay_alu instid0(VALU_DEP_3)
	v_pk_add_f32 v[12:13], v[22:23], v[12:13]
	s_wait_dscnt 0x0
	v_pk_add_f32 v[10:11], v[18:19], v[10:11]
	v_cmp_eq_u32_e64 s1, 0, v15
	v_xor_b32_e32 v30, 4, v29
	ds_bpermute_b32 v24, v41, v12
	ds_bpermute_b32 v25, v41, v13
	;; [unrolled: 1-line block ×4, first 2 shown]
	v_cndmask_b32_e64 v12, -v12, v12, s1
	v_cmp_gt_i32_e64 s5, 32, v30
	v_and_b32_e32 v36, 8, v0
	v_dual_cndmask_b32 v11, -v11, v11, s1 :: v_dual_bitop2_b32 v37, 16, v0 bitop3:0x40
	v_dual_cndmask_b32 v10, -v10, v10, s1 :: v_dual_bitop2_b32 v38, 7, v0 bitop3:0x40
	s_delay_alu instid0(VALU_DEP_4) | instskip(SKIP_3) | instid1(VALU_DEP_4)
	v_cndmask_b32_e64 v15, v29, v30, s5
	v_cndmask_b32_e64 v13, -v13, v13, s1
	v_dual_mov_b32 v18, v5 :: v_dual_bitop2_b32 v19, 4, v0 bitop3:0x40
	v_cmp_eq_u32_e64 s7, 0, v37
	v_lshlrev_b32_e32 v42, 2, v15
	v_pk_add_f32 v[14:15], v[2:3], v[14:15]
	v_pk_add_f32 v[2:3], v[0:1], v[2:3] neg_lo:[0,1] neg_hi:[0,1]
	v_xor_b32_e32 v1, 8, v29
	v_xor_b32_e32 v2, 16, v29
	s_wait_dscnt 0x2
	v_pk_add_f32 v[12:13], v[12:13], v[24:25]
	v_xor_b32_e32 v15, v32, v0
	s_wait_dscnt 0x0
	v_pk_add_f32 v[10:11], v[10:11], v[22:23]
	v_mov_b32_e32 v32, v21
	v_cmp_eq_u32_e64 s5, 0, v19
	ds_bpermute_b32 v30, v42, v12
	ds_bpermute_b32 v31, v42, v13
	ds_bpermute_b32 v24, v42, v10
	ds_bpermute_b32 v25, v42, v11
	v_cmp_gt_i32_e64 s6, 32, v1
	v_pk_add_f32 v[22:23], v[4:5], v[18:19]
	v_sub_f32_e32 v19, v7, v6
	v_dual_cndmask_b32 v7, -v11, v11, s5 :: v_dual_cndmask_b32 v6, -v10, v10, s5
	v_cndmask_b32_e64 v11, -v13, v13, s5
	v_dual_cndmask_b32 v1, v29, v1, s6 :: v_dual_cndmask_b32 v10, -v12, v12, s5
	v_pk_add_f32 v[12:13], v[34:35], v[32:33]
	v_sub_f32_e32 v23, v21, v20
	v_cmp_gt_i32_e64 s6, 32, v2
	s_delay_alu instid0(VALU_DEP_4)
	v_lshlrev_b32_e32 v1, 2, v1
	v_pk_add_f32 v[4:5], v[4:5], v[18:19] neg_lo:[0,1] neg_hi:[0,1]
	ds_bpermute_b32 v20, v40, v12
	ds_bpermute_b32 v21, v40, v13
	v_dual_cndmask_b32 v2, v29, v2, s6 :: v_dual_cndmask_b32 v12, -v12, v12, s4
	s_wait_dscnt 0x4
	v_pk_add_f32 v[10:11], v[10:11], v[30:31]
	ds_bpermute_b32 v33, v40, v19
	s_wait_dscnt 0x3
	v_pk_add_f32 v[6:7], v[6:7], v[24:25]
	v_lshlrev_b32_e32 v5, 5, v38
	ds_bpermute_b32 v32, v40, v23
	ds_bpermute_b32 v30, v1, v10
	;; [unrolled: 1-line block ×5, first 2 shown]
	v_cmp_eq_u32_e64 s6, 0, v36
	v_dual_lshlrev_b32 v43, 2, v2 :: v_dual_cndmask_b32 v13, -v13, v13, s4
	v_cndmask_b32_e64 v19, -v19, v19, s4
	v_cndmask_b32_e64 v18, -v23, v23, s4
	s_delay_alu instid0(VALU_DEP_4)
	v_dual_cndmask_b32 v11, -v11, v11, s6 :: v_dual_cndmask_b32 v10, -v10, v10, s6
	v_dual_cndmask_b32 v7, -v7, v7, s6 :: v_dual_cndmask_b32 v6, -v6, v6, s6
	s_wait_dscnt 0x6
	v_pk_add_f32 v[12:13], v[12:13], v[20:21]
	v_dual_mov_b32 v34, v16 :: v_dual_mov_b32 v35, v9
	v_lshl_add_u32 v29, v15, 4, 0
	v_bitop3_b32 v44, v5, v38, v39 bitop3:0x36
	v_dual_sub_f32 v2, v17, v16 :: v_dual_mov_b32 v15, v4
	s_wait_dscnt 0x4
	v_pk_add_f32 v[18:19], v[18:19], v[32:33]
	s_wait_dscnt 0x2
	v_pk_add_f32 v[10:11], v[10:11], v[30:31]
	ds_bpermute_b32 v30, v41, v12
	ds_bpermute_b32 v31, v41, v13
	s_wait_dscnt 0x2
	v_pk_add_f32 v[6:7], v[6:7], v[24:25]
	v_dual_mov_b32 v32, v17 :: v_dual_mov_b32 v33, v8
	v_dual_cndmask_b32 v13, -v13, v13, s1 :: v_dual_cndmask_b32 v12, -v12, v12, s1
	ds_bpermute_b32 v21, v43, v7
	v_cndmask_b32_e64 v5, -v7, v7, s7
	v_pk_add_f32 v[32:33], v[34:35], v[32:33]
	v_dual_sub_f32 v7, v9, v8 :: v_dual_mov_b32 v23, v3
	ds_bpermute_b32 v36, v41, v18
	v_dual_cndmask_b32 v9, -v19, v19, s1 :: v_dual_cndmask_b32 v8, -v18, v18, s1
	ds_bpermute_b32 v35, v40, v7
	v_cndmask_b32_e64 v18, -v32, v32, s4
	v_sub_f32_e32 v4, v3, v4
	ds_bpermute_b32 v16, v40, v32
	ds_bpermute_b32 v17, v40, v33
	;; [unrolled: 1-line block ×3, first 2 shown]
	s_wait_dscnt 0x6
	v_pk_add_f32 v[12:13], v[12:13], v[30:31]
	v_pk_add_f32 v[30:31], v[22:23], v[14:15]
	v_dual_cndmask_b32 v15, -v7, v7, s4 :: v_dual_sub_f32 v7, v14, v22
	v_cndmask_b32_e64 v14, -v2, v2, s4
	ds_bpermute_b32 v23, v40, v4
	ds_bpermute_b32 v2, v40, v30
	;; [unrolled: 1-line block ×5, first 2 shown]
	v_dual_cndmask_b32 v19, -v33, v33, s4 :: v_dual_cndmask_b32 v31, -v31, v31, s4
	v_dual_cndmask_b32 v30, -v30, v30, s4 :: v_dual_cndmask_b32 v39, -v4, v4, s4
	;; [unrolled: 1-line block ×3, first 2 shown]
	ds_bpermute_b32 v20, v43, v6
	ds_bpermute_b32 v32, v42, v12
	s_wait_dscnt 0x8
	v_pk_add_f32 v[16:17], v[18:19], v[16:17]
	s_wait_dscnt 0x7
	v_pk_add_f32 v[14:15], v[14:15], v[34:35]
	ds_bpermute_b32 v33, v42, v13
	v_dual_cndmask_b32 v7, -v13, v13, s5 :: v_dual_cndmask_b32 v6, -v12, v12, s5
	ds_bpermute_b32 v34, v41, v16
	ds_bpermute_b32 v35, v41, v17
	v_dual_cndmask_b32 v17, -v17, v17, s1 :: v_dual_cndmask_b32 v16, -v16, v16, s1
	s_wait_dscnt 0x7
	v_pk_add_f32 v[2:3], v[30:31], v[2:3]
	s_wait_dscnt 0x6
	v_pk_add_f32 v[12:13], v[38:39], v[22:23]
	;; [unrolled: 2-line block ×3, first 2 shown]
	ds_bpermute_b32 v36, v41, v14
	ds_bpermute_b32 v37, v41, v15
	;; [unrolled: 1-line block ×8, first 2 shown]
	v_dual_cndmask_b32 v15, -v15, v15, s1 :: v_dual_cndmask_b32 v14, -v14, v14, s1
	ds_bpermute_b32 v25, v43, v11
	v_dual_cndmask_b32 v11, -v11, v11, s7 :: v_dual_cndmask_b32 v2, -v2, v2, s1
	s_wait_dscnt 0xb
	v_pk_add_f32 v[6:7], v[6:7], v[32:33]
	v_dual_cndmask_b32 v3, -v3, v3, s1 :: v_dual_cndmask_b32 v13, -v13, v13, s1
	v_dual_cndmask_b32 v12, -v12, v12, s1 :: v_dual_cndmask_b32 v9, -v9, v9, s5
	v_cndmask_b32_e64 v8, -v8, v8, s5
	s_wait_dscnt 0x9
	v_pk_add_f32 v[16:17], v[16:17], v[34:35]
	ds_bpermute_b32 v24, v43, v10
	s_wait_dscnt 0x8
	v_pk_add_f32 v[14:15], v[14:15], v[36:37]
	v_cndmask_b32_e64 v10, -v10, v10, s7
	s_wait_dscnt 0x6
	v_pk_add_f32 v[2:3], v[2:3], v[22:23]
	ds_bpermute_b32 v23, v1, v7
	v_cndmask_b32_e64 v7, -v7, v7, s6
	s_wait_dscnt 0x5
	v_pk_add_f32 v[12:13], v[12:13], v[30:31]
	s_wait_dscnt 0x3
	v_pk_add_f32 v[8:9], v[8:9], v[18:19]
	ds_bpermute_b32 v18, v42, v16
	ds_bpermute_b32 v19, v42, v17
	;; [unrolled: 1-line block ×9, first 2 shown]
	v_dual_cndmask_b32 v17, -v17, v17, s5 :: v_dual_cndmask_b32 v16, -v16, v16, s5
	v_dual_cndmask_b32 v15, -v15, v15, s5 :: v_dual_cndmask_b32 v14, -v14, v14, s5
	ds_bpermute_b32 v30, v1, v8
	v_dual_cndmask_b32 v8, -v8, v8, s6 :: v_dual_cndmask_b32 v3, -v3, v3, s5
	v_dual_cndmask_b32 v2, -v2, v2, s5 :: v_dual_cndmask_b32 v13, -v13, v13, s5
	;; [unrolled: 1-line block ×3, first 2 shown]
	ds_bpermute_b32 v31, v1, v9
	s_wait_dscnt 0x9
	v_pk_add_f32 v[16:17], v[16:17], v[18:19]
	v_cndmask_b32_e64 v9, -v9, v9, s6
	s_wait_dscnt 0x7
	v_pk_add_f32 v[14:15], v[14:15], v[32:33]
	s_wait_dscnt 0x5
	v_pk_add_f32 v[2:3], v[2:3], v[34:35]
	ds_bpermute_b32 v18, v1, v16
	s_wait_dscnt 0x4
	v_pk_add_f32 v[12:13], v[12:13], v[36:37]
	ds_bpermute_b32 v19, v1, v17
	;; [unrolled: 3-line block ×3, first 2 shown]
	ds_bpermute_b32 v23, v1, v15
	ds_bpermute_b32 v32, v1, v2
	;; [unrolled: 1-line block ×5, first 2 shown]
	v_dual_cndmask_b32 v17, -v17, v17, s6 :: v_dual_cndmask_b32 v16, -v16, v16, s6
	v_dual_cndmask_b32 v15, -v15, v15, s6 :: v_dual_cndmask_b32 v14, -v14, v14, s6
	;; [unrolled: 1-line block ×4, first 2 shown]
	s_wait_dscnt 0x8
	v_pk_add_f32 v[8:9], v[8:9], v[30:31]
	ds_bpermute_b32 v30, v43, v6
	ds_bpermute_b32 v31, v43, v7
	v_dual_cndmask_b32 v7, -v7, v7, s7 :: v_dual_cndmask_b32 v6, -v6, v6, s7
	s_wait_dscnt 0x8
	v_pk_add_f32 v[16:17], v[16:17], v[18:19]
	ds_bpermute_b32 v36, v43, v8
	s_wait_dscnt 0x7
	v_pk_add_f32 v[14:15], v[14:15], v[22:23]
	ds_bpermute_b32 v37, v43, v9
	;; [unrolled: 3-line block ×4, first 2 shown]
	ds_bpermute_b32 v32, v43, v14
	ds_bpermute_b32 v33, v43, v15
	;; [unrolled: 1-line block ×6, first 2 shown]
	v_dual_cndmask_b32 v9, -v9, v9, s7 :: v_dual_cndmask_b32 v8, -v8, v8, s7
	v_pk_add_f32 v[2:3], v[4:5], v[20:21]
	v_pk_add_f32 v[4:5], v[10:11], v[24:25]
	v_dual_cndmask_b32 v11, -v17, v17, s7 :: v_dual_cndmask_b32 v10, -v16, v16, s7
	v_dual_cndmask_b32 v15, -v15, v15, s7 :: v_dual_cndmask_b32 v14, -v14, v14, s7
	;; [unrolled: 1-line block ×4, first 2 shown]
	v_lshl_add_u32 v1, v44, 4, 0
	s_wait_dscnt 0xa
	v_pk_add_f32 v[6:7], v[6:7], v[30:31]
	s_wait_dscnt 0x8
	v_pk_add_f32 v[8:9], v[8:9], v[36:37]
	s_wait_dscnt 0x6
	v_pk_add_f32 v[10:11], v[10:11], v[18:19]
	s_wait_dscnt 0x4
	v_pk_add_f32 v[12:13], v[14:15], v[32:33]
	s_wait_dscnt 0x2
	v_pk_add_f32 v[14:15], v[16:17], v[34:35]
	s_wait_dscnt 0x0
	v_pk_add_f32 v[16:17], v[20:21], v[38:39]
	ds_store_b128 v29, v[2:5]
	ds_store_b128 v29, v[6:9] offset:4096
	ds_store_b128 v29, v[10:13] offset:8192
	;; [unrolled: 1-line block ×3, first 2 shown]
	s_wait_dscnt 0x0
	s_barrier_signal -1
	s_barrier_wait -1
	ds_load_b128 v[2:5], v1
	ds_load_b128 v[6:9], v1 offset:4096
	s_wait_dscnt 0x1
	ds_bpermute_b32 v10, v40, v2
	ds_bpermute_b32 v11, v40, v3
	;; [unrolled: 1-line block ×4, first 2 shown]
	v_dual_cndmask_b32 v3, -v3, v3, s4 :: v_dual_cndmask_b32 v2, -v2, v2, s4
	v_dual_cndmask_b32 v5, -v5, v5, s4 :: v_dual_cndmask_b32 v4, -v4, v4, s4
	s_wait_dscnt 0x4
	ds_bpermute_b32 v18, v40, v6
	ds_bpermute_b32 v19, v40, v7
	;; [unrolled: 1-line block ×4, first 2 shown]
	v_dual_cndmask_b32 v7, -v7, v7, s4 :: v_dual_cndmask_b32 v9, -v9, v9, s4
	v_dual_cndmask_b32 v8, -v8, v8, s4 :: v_dual_cndmask_b32 v6, -v6, v6, s4
	s_wait_dscnt 0x6
	v_pk_add_f32 v[2:3], v[2:3], v[10:11]
	s_wait_dscnt 0x4
	v_pk_add_f32 v[10:11], v[4:5], v[12:13]
	ds_bpermute_b32 v12, v41, v2
	ds_bpermute_b32 v13, v41, v3
	;; [unrolled: 1-line block ×4, first 2 shown]
	v_dual_cndmask_b32 v17, -v3, v3, s1 :: v_dual_cndmask_b32 v16, -v2, v2, s1
	ds_load_b128 v[2:5], v1 offset:8192
	v_dual_cndmask_b32 v11, -v11, v11, s1 :: v_dual_cndmask_b32 v10, -v10, v10, s1
	s_wait_dscnt 0x7
	v_pk_add_f32 v[6:7], v[6:7], v[18:19]
	s_wait_dscnt 0x5
	v_pk_add_f32 v[8:9], v[8:9], v[20:21]
	ds_bpermute_b32 v30, v41, v6
	ds_bpermute_b32 v31, v41, v7
	;; [unrolled: 1-line block ×3, first 2 shown]
	v_dual_cndmask_b32 v9, -v9, v9, s1 :: v_dual_cndmask_b32 v6, -v6, v6, s1
	ds_bpermute_b32 v32, v41, v8
	v_cndmask_b32_e64 v8, -v8, v8, s1
	s_wait_dscnt 0x7
	v_pk_add_f32 v[16:17], v[16:17], v[12:13]
	s_wait_dscnt 0x5
	v_pk_add_f32 v[14:15], v[10:11], v[14:15]
	ds_load_b128 v[10:13], v1 offset:12288
	v_cndmask_b32_e64 v7, -v7, v7, s1
	s_wait_dscnt 0x5
	ds_bpermute_b32 v18, v40, v2
	ds_bpermute_b32 v19, v40, v3
	;; [unrolled: 1-line block ×4, first 2 shown]
	v_dual_cndmask_b32 v3, -v3, v3, s4 :: v_dual_cndmask_b32 v4, -v4, v4, s4
	v_dual_cndmask_b32 v2, -v2, v2, s4 :: v_dual_cndmask_b32 v5, -v5, v5, s4
	ds_bpermute_b32 v24, v42, v14
	s_wait_dscnt 0x8
	v_pk_add_f32 v[6:7], v[6:7], v[30:31]
	ds_bpermute_b32 v25, v42, v15
	ds_bpermute_b32 v22, v42, v16
	;; [unrolled: 1-line block ×3, first 2 shown]
	s_wait_dscnt 0x9
	v_pk_add_f32 v[8:9], v[8:9], v[32:33]
	ds_bpermute_b32 v32, v42, v6
	ds_bpermute_b32 v33, v42, v7
	v_dual_cndmask_b32 v15, -v15, v15, s5 :: v_dual_cndmask_b32 v14, -v14, v14, s5
	s_wait_dscnt 0xa
	ds_bpermute_b32 v34, v40, v10
	ds_bpermute_b32 v35, v40, v11
	;; [unrolled: 1-line block ×4, first 2 shown]
	s_wait_dscnt 0xc
	v_pk_add_f32 v[2:3], v[2:3], v[18:19]
	v_dual_cndmask_b32 v11, -v11, v11, s4 :: v_dual_cndmask_b32 v10, -v10, v10, s4
	v_dual_cndmask_b32 v13, -v13, v13, s4 :: v_dual_cndmask_b32 v12, -v12, v12, s4
	s_wait_dscnt 0xa
	v_pk_add_f32 v[4:5], v[4:5], v[20:21]
	ds_bpermute_b32 v18, v41, v2
	ds_bpermute_b32 v19, v41, v3
	v_dual_cndmask_b32 v3, -v3, v3, s1 :: v_dual_cndmask_b32 v2, -v2, v2, s1
	ds_bpermute_b32 v20, v41, v4
	ds_bpermute_b32 v21, v41, v5
	v_dual_cndmask_b32 v5, -v5, v5, s1 :: v_dual_cndmask_b32 v4, -v4, v4, s1
	v_dual_cndmask_b32 v17, -v17, v17, s5 :: v_dual_cndmask_b32 v16, -v16, v16, s5
	;; [unrolled: 1-line block ×3, first 2 shown]
	s_wait_dscnt 0x6
	v_pk_add_f32 v[10:11], v[10:11], v[34:35]
	s_wait_dscnt 0x4
	v_pk_add_f32 v[12:13], v[12:13], v[36:37]
	ds_bpermute_b32 v36, v42, v8
	ds_bpermute_b32 v37, v42, v9
	v_dual_cndmask_b32 v9, -v9, v9, s5 :: v_dual_cndmask_b32 v8, -v8, v8, s5
	ds_bpermute_b32 v30, v41, v10
	ds_bpermute_b32 v31, v41, v11
	;; [unrolled: 1-line block ×4, first 2 shown]
	s_wait_dscnt 0x8
	v_pk_add_f32 v[18:19], v[2:3], v[18:19]
	v_dual_cndmask_b32 v3, -v11, v11, s1 :: v_dual_cndmask_b32 v2, -v10, v10, s1
	v_dual_cndmask_b32 v11, -v13, v13, s1 :: v_dual_cndmask_b32 v10, -v12, v12, s1
	s_wait_dscnt 0x6
	v_pk_add_f32 v[12:13], v[4:5], v[20:21]
	ds_bpermute_b32 v20, v42, v18
	ds_bpermute_b32 v21, v42, v19
	v_pk_add_f32 v[4:5], v[14:15], v[24:25]
	v_dual_cndmask_b32 v15, -v19, v19, s5 :: v_dual_cndmask_b32 v14, -v18, v18, s5
	v_pk_add_f32 v[6:7], v[6:7], v[32:33]
	s_wait_dscnt 0x0
	v_pk_add_f32 v[8:9], v[8:9], v[36:37]
	s_barrier_signal -1
	s_barrier_wait -1
	v_pk_add_f32 v[30:31], v[2:3], v[30:31]
	v_pk_add_f32 v[2:3], v[16:17], v[22:23]
	;; [unrolled: 1-line block ×3, first 2 shown]
	ds_bpermute_b32 v34, v42, v12
	ds_bpermute_b32 v35, v42, v13
	;; [unrolled: 1-line block ×6, first 2 shown]
	v_dual_cndmask_b32 v13, -v13, v13, s5 :: v_dual_cndmask_b32 v12, -v12, v12, s5
	v_dual_cndmask_b32 v19, -v31, v31, s5 :: v_dual_cndmask_b32 v16, -v10, v10, s5
	;; [unrolled: 1-line block ×3, first 2 shown]
	v_pk_add_f32 v[10:11], v[14:15], v[20:21]
	s_mul_u64 s[4:5], s[10:11], s[16:17]
	s_delay_alu instid0(SALU_CYCLE_1) | instskip(NEXT) | instid1(SALU_CYCLE_1)
	s_lshl_b64 s[4:5], s[4:5], 2
	s_add_nc_u64 s[4:5], s[14:15], s[4:5]
	s_wait_dscnt 0x4
	v_pk_add_f32 v[12:13], v[12:13], v[34:35]
	s_wait_dscnt 0x2
	v_pk_add_f32 v[14:15], v[18:19], v[38:39]
	;; [unrolled: 2-line block ×3, first 2 shown]
	ds_store_b128 v1, v[2:5]
	ds_store_b128 v1, v[6:9] offset:4096
	ds_store_b128 v1, v[10:13] offset:8192
	;; [unrolled: 1-line block ×3, first 2 shown]
	s_wait_dscnt 0x0
	s_barrier_signal -1
	s_barrier_wait -1
	ds_load_b128 v[2:5], v29
	ds_load_b128 v[6:9], v29 offset:4096
	ds_load_b128 v[10:13], v29 offset:8192
	;; [unrolled: 1-line block ×3, first 2 shown]
	s_wait_dscnt 0x2
	v_pk_add_f32 v[20:21], v[2:3], v[6:7]
	v_pk_add_f32 v[18:19], v[4:5], v[8:9]
	s_wait_dscnt 0x0
	v_pk_add_f32 v[22:23], v[10:11], v[14:15]
	v_pk_add_f32 v[24:25], v[12:13], v[16:17]
	s_and_saveexec_b32 s1, vcc_lo
	s_cbranch_execz .LBB9_10
; %bb.9:
	v_mov_b64_e32 v[32:33], s[8:9]
	v_pk_add_f32 v[30:31], v[20:21], v[22:23]
	v_pk_add_f32 v[34:35], v[18:19], v[24:25]
	s_delay_alu instid0(VALU_DEP_2) | instskip(NEXT) | instid1(VALU_DEP_2)
	v_pk_mul_f32 v[30:31], v[32:33], v[30:31]
	v_pk_mul_f32 v[32:33], v[32:33], v[34:35]
	global_store_b128 v0, v[30:33], s[4:5] scale_offset
.LBB9_10:
	s_wait_xcnt 0x0
	s_or_b32 exec_lo, exec_lo, s1
	v_pk_add_f32 v[2:3], v[2:3], v[6:7] neg_lo:[0,1] neg_hi:[0,1]
	v_pk_add_f32 v[6:7], v[10:11], v[14:15] neg_lo:[0,1] neg_hi:[0,1]
	v_pk_add_f32 v[0:1], v[4:5], v[8:9] neg_lo:[0,1] neg_hi:[0,1]
	v_pk_add_f32 v[4:5], v[12:13], v[16:17] neg_lo:[0,1] neg_hi:[0,1]
	s_and_saveexec_b32 s1, s2
	s_cbranch_execnz .LBB9_14
; %bb.11:
	s_or_b32 exec_lo, exec_lo, s1
	s_and_saveexec_b32 s1, s3
	s_cbranch_execnz .LBB9_15
.LBB9_12:
	s_or_b32 exec_lo, exec_lo, s1
	s_and_saveexec_b32 s1, s0
	s_cbranch_execnz .LBB9_16
.LBB9_13:
	s_endpgm
.LBB9_14:
	v_mov_b64_e32 v[10:11], s[8:9]
	v_pk_add_f32 v[8:9], v[2:3], v[6:7]
	v_pk_add_f32 v[12:13], v[0:1], v[4:5]
	s_delay_alu instid0(VALU_DEP_2) | instskip(NEXT) | instid1(VALU_DEP_2)
	v_pk_mul_f32 v[8:9], v[10:11], v[8:9]
	v_pk_mul_f32 v[10:11], v[10:11], v[12:13]
	global_store_b128 v26, v[8:11], s[4:5] scale_offset
	s_wait_xcnt 0x0
	s_or_b32 exec_lo, exec_lo, s1
	s_and_saveexec_b32 s1, s3
	s_cbranch_execz .LBB9_12
.LBB9_15:
	v_mov_b64_e32 v[10:11], s[8:9]
	v_pk_add_f32 v[8:9], v[20:21], v[22:23] neg_lo:[0,1] neg_hi:[0,1]
	v_pk_add_f32 v[12:13], v[18:19], v[24:25] neg_lo:[0,1] neg_hi:[0,1]
	s_delay_alu instid0(VALU_DEP_2) | instskip(NEXT) | instid1(VALU_DEP_2)
	v_pk_mul_f32 v[8:9], v[10:11], v[8:9]
	v_pk_mul_f32 v[10:11], v[10:11], v[12:13]
	global_store_b128 v27, v[8:11], s[4:5] scale_offset
	s_wait_xcnt 0x0
	s_or_b32 exec_lo, exec_lo, s1
	s_and_saveexec_b32 s1, s0
	s_cbranch_execz .LBB9_13
.LBB9_16:
	v_pk_add_f32 v[2:3], v[2:3], v[6:7] neg_lo:[0,1] neg_hi:[0,1]
	v_mov_b64_e32 v[6:7], s[8:9]
	v_pk_add_f32 v[4:5], v[0:1], v[4:5] neg_lo:[0,1] neg_hi:[0,1]
	s_delay_alu instid0(VALU_DEP_2) | instskip(NEXT) | instid1(VALU_DEP_2)
	v_pk_mul_f32 v[0:1], v[6:7], v[2:3]
	v_pk_mul_f32 v[2:3], v[6:7], v[4:5]
	global_store_b128 v28, v[0:3], s[4:5] scale_offset
	s_endpgm
	.section	.rodata,"a",@progbits
	.p2align	6, 0x0
	.amdhsa_kernel _Z30fast_hadamard_transform_kernelI37fast_hadamard_transform_kernel_traitsILi256ELi12EfEEv18HadamardParamsBase
		.amdhsa_group_segment_fixed_size 0
		.amdhsa_private_segment_fixed_size 0
		.amdhsa_kernarg_size 312
		.amdhsa_user_sgpr_count 2
		.amdhsa_user_sgpr_dispatch_ptr 0
		.amdhsa_user_sgpr_queue_ptr 0
		.amdhsa_user_sgpr_kernarg_segment_ptr 1
		.amdhsa_user_sgpr_dispatch_id 0
		.amdhsa_user_sgpr_kernarg_preload_length 0
		.amdhsa_user_sgpr_kernarg_preload_offset 0
		.amdhsa_user_sgpr_private_segment_size 0
		.amdhsa_wavefront_size32 1
		.amdhsa_uses_dynamic_stack 0
		.amdhsa_enable_private_segment 0
		.amdhsa_system_sgpr_workgroup_id_x 1
		.amdhsa_system_sgpr_workgroup_id_y 0
		.amdhsa_system_sgpr_workgroup_id_z 0
		.amdhsa_system_sgpr_workgroup_info 0
		.amdhsa_system_vgpr_workitem_id 0
		.amdhsa_next_free_vgpr 45
		.amdhsa_next_free_sgpr 18
		.amdhsa_named_barrier_count 0
		.amdhsa_reserve_vcc 1
		.amdhsa_float_round_mode_32 0
		.amdhsa_float_round_mode_16_64 0
		.amdhsa_float_denorm_mode_32 3
		.amdhsa_float_denorm_mode_16_64 3
		.amdhsa_fp16_overflow 0
		.amdhsa_memory_ordered 1
		.amdhsa_forward_progress 1
		.amdhsa_inst_pref_size 32
		.amdhsa_round_robin_scheduling 0
		.amdhsa_exception_fp_ieee_invalid_op 0
		.amdhsa_exception_fp_denorm_src 0
		.amdhsa_exception_fp_ieee_div_zero 0
		.amdhsa_exception_fp_ieee_overflow 0
		.amdhsa_exception_fp_ieee_underflow 0
		.amdhsa_exception_fp_ieee_inexact 0
		.amdhsa_exception_int_div_zero 0
	.end_amdhsa_kernel
	.section	.text._Z30fast_hadamard_transform_kernelI37fast_hadamard_transform_kernel_traitsILi256ELi12EfEEv18HadamardParamsBase,"axG",@progbits,_Z30fast_hadamard_transform_kernelI37fast_hadamard_transform_kernel_traitsILi256ELi12EfEEv18HadamardParamsBase,comdat
.Lfunc_end9:
	.size	_Z30fast_hadamard_transform_kernelI37fast_hadamard_transform_kernel_traitsILi256ELi12EfEEv18HadamardParamsBase, .Lfunc_end9-_Z30fast_hadamard_transform_kernelI37fast_hadamard_transform_kernel_traitsILi256ELi12EfEEv18HadamardParamsBase
                                        ; -- End function
	.set _Z30fast_hadamard_transform_kernelI37fast_hadamard_transform_kernel_traitsILi256ELi12EfEEv18HadamardParamsBase.num_vgpr, 45
	.set _Z30fast_hadamard_transform_kernelI37fast_hadamard_transform_kernel_traitsILi256ELi12EfEEv18HadamardParamsBase.num_agpr, 0
	.set _Z30fast_hadamard_transform_kernelI37fast_hadamard_transform_kernel_traitsILi256ELi12EfEEv18HadamardParamsBase.numbered_sgpr, 18
	.set _Z30fast_hadamard_transform_kernelI37fast_hadamard_transform_kernel_traitsILi256ELi12EfEEv18HadamardParamsBase.num_named_barrier, 0
	.set _Z30fast_hadamard_transform_kernelI37fast_hadamard_transform_kernel_traitsILi256ELi12EfEEv18HadamardParamsBase.private_seg_size, 0
	.set _Z30fast_hadamard_transform_kernelI37fast_hadamard_transform_kernel_traitsILi256ELi12EfEEv18HadamardParamsBase.uses_vcc, 1
	.set _Z30fast_hadamard_transform_kernelI37fast_hadamard_transform_kernel_traitsILi256ELi12EfEEv18HadamardParamsBase.uses_flat_scratch, 0
	.set _Z30fast_hadamard_transform_kernelI37fast_hadamard_transform_kernel_traitsILi256ELi12EfEEv18HadamardParamsBase.has_dyn_sized_stack, 0
	.set _Z30fast_hadamard_transform_kernelI37fast_hadamard_transform_kernel_traitsILi256ELi12EfEEv18HadamardParamsBase.has_recursion, 0
	.set _Z30fast_hadamard_transform_kernelI37fast_hadamard_transform_kernel_traitsILi256ELi12EfEEv18HadamardParamsBase.has_indirect_call, 0
	.section	.AMDGPU.csdata,"",@progbits
; Kernel info:
; codeLenInByte = 4044
; TotalNumSgprs: 20
; NumVgprs: 45
; ScratchSize: 0
; MemoryBound: 0
; FloatMode: 240
; IeeeMode: 1
; LDSByteSize: 0 bytes/workgroup (compile time only)
; SGPRBlocks: 0
; VGPRBlocks: 2
; NumSGPRsForWavesPerEU: 20
; NumVGPRsForWavesPerEU: 45
; NamedBarCnt: 0
; Occupancy: 16
; WaveLimiterHint : 0
; COMPUTE_PGM_RSRC2:SCRATCH_EN: 0
; COMPUTE_PGM_RSRC2:USER_SGPR: 2
; COMPUTE_PGM_RSRC2:TRAP_HANDLER: 0
; COMPUTE_PGM_RSRC2:TGID_X_EN: 1
; COMPUTE_PGM_RSRC2:TGID_Y_EN: 0
; COMPUTE_PGM_RSRC2:TGID_Z_EN: 0
; COMPUTE_PGM_RSRC2:TIDIG_COMP_CNT: 0
	.section	.text._Z30fast_hadamard_transform_kernelI37fast_hadamard_transform_kernel_traitsILi256ELi13EfEEv18HadamardParamsBase,"axG",@progbits,_Z30fast_hadamard_transform_kernelI37fast_hadamard_transform_kernel_traitsILi256ELi13EfEEv18HadamardParamsBase,comdat
	.protected	_Z30fast_hadamard_transform_kernelI37fast_hadamard_transform_kernel_traitsILi256ELi13EfEEv18HadamardParamsBase ; -- Begin function _Z30fast_hadamard_transform_kernelI37fast_hadamard_transform_kernel_traitsILi256ELi13EfEEv18HadamardParamsBase
	.globl	_Z30fast_hadamard_transform_kernelI37fast_hadamard_transform_kernel_traitsILi256ELi13EfEEv18HadamardParamsBase
	.p2align	8
	.type	_Z30fast_hadamard_transform_kernelI37fast_hadamard_transform_kernel_traitsILi256ELi13EfEEv18HadamardParamsBase,@function
_Z30fast_hadamard_transform_kernelI37fast_hadamard_transform_kernel_traitsILi256ELi13EfEEv18HadamardParamsBase: ; @_Z30fast_hadamard_transform_kernelI37fast_hadamard_transform_kernel_traitsILi256ELi13EfEEv18HadamardParamsBase
; %bb.0:
	s_clause 0x3
	s_load_b128 s[12:15], s[0:1], 0x10
	s_load_b32 s10, s[0:1], 0x4
	s_load_b128 s[16:19], s[0:1], 0x28
	s_load_b32 s2, s[0:1], 0x44
	s_bfe_u32 s4, ttmp6, 0x4000c
	s_and_b32 s3, ttmp6, 15
	s_add_co_i32 s4, s4, 1
	s_getreg_b32 s5, hwreg(HW_REG_IB_STS2, 6, 4)
	s_mul_i32 s4, ttmp9, s4
	v_dual_mov_b32 v22, 0 :: v_dual_lshlrev_b32 v1, 2, v0
	s_add_co_i32 s3, s3, s4
	s_cmp_eq_u32 s5, 0
	v_dual_mov_b32 v28, 0 :: v_dual_mov_b32 v29, 0
	s_cselect_b32 s20, ttmp9, s3
	v_dual_mov_b32 v12, 0 :: v_dual_mov_b32 v13, 0
	s_ashr_i32 s21, s20, 31
	s_wait_kmcnt 0x0
	s_mul_u64 s[4:5], s[12:13], s[20:21]
	v_cmp_gt_u32_e32 vcc_lo, s10, v1
	s_lshl_b64 s[4:5], s[4:5], 2
	s_delay_alu instid0(SALU_CYCLE_1)
	s_add_nc_u64 s[8:9], s[16:17], s[4:5]
	s_and_saveexec_b32 s3, vcc_lo
	s_cbranch_execz .LBB10_2
; %bb.1:
	global_load_b128 v[12:15], v0, s[8:9] scale_offset
	s_wait_loadcnt 0x0
	v_dual_mov_b32 v28, v14 :: v_dual_mov_b32 v29, v12
	v_mov_b32_e32 v12, v15
.LBB10_2:
	s_or_b32 exec_lo, exec_lo, s3
	s_and_b32 s11, 0xffff, s2
	s_delay_alu instid0(SALU_CYCLE_1) | instskip(SKIP_1) | instid1(VALU_DEP_2)
	v_dual_mov_b32 v3, 0 :: v_dual_add_nc_u32 v62, s11, v0
	v_dual_mov_b32 v23, 0 :: v_dual_mov_b32 v2, 0
	v_lshlrev_b32_e32 v1, 2, v62
	s_delay_alu instid0(VALU_DEP_1)
	v_cmp_gt_u32_e64 s2, s10, v1
	s_and_saveexec_b32 s3, s2
	s_cbranch_execz .LBB10_4
; %bb.3:
	global_load_b128 v[2:5], v62, s[8:9] scale_offset
	s_wait_loadcnt 0x0
	v_dual_mov_b32 v22, v4 :: v_dual_mov_b32 v23, v2
	v_mov_b32_e32 v2, v5
.LBB10_4:
	s_or_b32 exec_lo, exec_lo, s3
	v_dual_mov_b32 v26, 0 :: v_dual_add_nc_u32 v63, s11, v62
	v_dual_mov_b32 v25, 0 :: v_dual_mov_b32 v4, 0
	s_delay_alu instid0(VALU_DEP_2) | instskip(SKIP_1) | instid1(VALU_DEP_2)
	v_dual_mov_b32 v5, 0 :: v_dual_lshlrev_b32 v1, 2, v63
	v_mov_b32_e32 v24, 0
	v_cmp_gt_u32_e64 s3, s10, v1
	s_and_saveexec_b32 s4, s3
	s_cbranch_execz .LBB10_6
; %bb.5:
	global_load_b128 v[4:7], v63, s[8:9] scale_offset
	s_wait_loadcnt 0x0
	v_dual_mov_b32 v24, v6 :: v_dual_mov_b32 v25, v4
	v_mov_b32_e32 v4, v7
.LBB10_6:
	s_or_b32 exec_lo, exec_lo, s4
	v_dual_mov_b32 v27, 0 :: v_dual_add_nc_u32 v64, s11, v63
	v_dual_mov_b32 v7, 0 :: v_dual_mov_b32 v6, 0
	s_delay_alu instid0(VALU_DEP_2) | instskip(NEXT) | instid1(VALU_DEP_1)
	v_lshlrev_b32_e32 v1, 2, v64
	v_cmp_gt_u32_e64 s4, s10, v1
	s_and_saveexec_b32 s5, s4
	s_cbranch_execz .LBB10_8
; %bb.7:
	global_load_b128 v[6:9], v64, s[8:9] scale_offset
	s_wait_loadcnt 0x0
	v_dual_mov_b32 v26, v8 :: v_dual_mov_b32 v27, v6
	v_mov_b32_e32 v6, v9
.LBB10_8:
	s_or_b32 exec_lo, exec_lo, s5
	v_dual_mov_b32 v30, 0 :: v_dual_add_nc_u32 v65, s11, v64
	v_dual_mov_b32 v33, 0 :: v_dual_mov_b32 v14, 0
	s_delay_alu instid0(VALU_DEP_2) | instskip(SKIP_1) | instid1(VALU_DEP_2)
	v_dual_mov_b32 v15, 0 :: v_dual_lshlrev_b32 v1, 2, v65
	v_mov_b32_e32 v32, 0
	v_cmp_gt_u32_e64 s5, s10, v1
	s_and_saveexec_b32 s6, s5
	s_cbranch_execz .LBB10_10
; %bb.9:
	global_load_b128 v[14:17], v65, s[8:9] scale_offset
	s_wait_loadcnt 0x0
	v_dual_mov_b32 v32, v16 :: v_dual_mov_b32 v33, v14
	v_mov_b32_e32 v14, v17
.LBB10_10:
	s_or_b32 exec_lo, exec_lo, s6
	v_dual_mov_b32 v31, 0 :: v_dual_add_nc_u32 v66, s11, v65
	v_dual_mov_b32 v17, 0 :: v_dual_mov_b32 v16, 0
	s_delay_alu instid0(VALU_DEP_2) | instskip(NEXT) | instid1(VALU_DEP_1)
	v_lshlrev_b32_e32 v1, 2, v66
	v_cmp_gt_u32_e64 s6, s10, v1
	s_and_saveexec_b32 s7, s6
	s_cbranch_execz .LBB10_12
; %bb.11:
	global_load_b128 v[16:19], v66, s[8:9] scale_offset
	s_wait_loadcnt 0x0
	v_dual_mov_b32 v30, v18 :: v_dual_mov_b32 v31, v16
	v_mov_b32_e32 v16, v19
.LBB10_12:
	s_or_b32 exec_lo, exec_lo, s7
	v_dual_mov_b32 v8, 0 :: v_dual_add_nc_u32 v67, s11, v66
	v_dual_mov_b32 v35, 0 :: v_dual_mov_b32 v18, 0
	s_delay_alu instid0(VALU_DEP_2) | instskip(SKIP_1) | instid1(VALU_DEP_2)
	v_dual_mov_b32 v19, 0 :: v_dual_lshlrev_b32 v1, 2, v67
	v_mov_b32_e32 v34, 0
	v_cmp_gt_u32_e64 s7, s10, v1
	s_and_saveexec_b32 s12, s7
	s_cbranch_execz .LBB10_14
; %bb.13:
	global_load_b128 v[18:21], v67, s[8:9] scale_offset
	s_wait_loadcnt 0x0
	v_dual_mov_b32 v34, v20 :: v_dual_mov_b32 v35, v18
	v_mov_b32_e32 v18, v21
.LBB10_14:
	s_or_b32 exec_lo, exec_lo, s12
	s_load_b32 s12, s[0:1], 0x20
	v_dual_mov_b32 v9, 0 :: v_dual_add_nc_u32 v68, s11, v67
	v_dual_mov_b32 v11, 0 :: v_dual_mov_b32 v10, 0
	s_delay_alu instid0(VALU_DEP_2) | instskip(SKIP_1) | instid1(VALU_DEP_1)
	v_lshlrev_b32_e32 v1, 2, v68
	s_wait_xcnt 0x0
	v_cmp_gt_u32_e64 s0, s10, v1
	s_and_saveexec_b32 s1, s0
	s_cbranch_execz .LBB10_16
; %bb.15:
	global_load_b128 v[8:11], v68, s[8:9] scale_offset
.LBB10_16:
	s_wait_xcnt 0x0
	s_or_b32 exec_lo, exec_lo, s1
	v_mbcnt_lo_u32_b32 v50, -1, 0
	v_pk_add_f32 v[36:37], v[28:29], v[12:13]
	v_pk_add_f32 v[12:13], v[28:29], v[12:13] neg_lo:[0,1] neg_hi:[0,1]
	v_pk_add_f32 v[38:39], v[22:23], v[2:3]
	v_pk_add_f32 v[42:43], v[22:23], v[2:3] neg_lo:[0,1] neg_hi:[0,1]
	s_delay_alu instid0(VALU_DEP_4) | instskip(NEXT) | instid1(VALU_DEP_4)
	v_dual_mov_b32 v20, v37 :: v_dual_bitop2_b32 v1, 1, v50 bitop3:0x14
	v_dual_mov_b32 v21, v12 :: v_dual_mov_b32 v28, v36
	v_pk_add_f32 v[44:45], v[24:25], v[4:5]
	s_delay_alu instid0(VALU_DEP_3)
	v_cmp_gt_i32_e64 s1, 32, v1
	v_mov_b32_e32 v29, v13
	v_pk_add_f32 v[46:47], v[24:25], v[4:5] neg_lo:[0,1] neg_hi:[0,1]
	v_pk_add_f32 v[2:3], v[32:33], v[14:15]
	v_pk_add_f32 v[4:5], v[32:33], v[14:15] neg_lo:[0,1] neg_hi:[0,1]
	v_cndmask_b32_e64 v1, v50, v1, s1
	v_pk_add_f32 v[40:41], v[28:29], v[20:21]
	v_dual_sub_f32 v29, v13, v12 :: v_dual_bitop2_b32 v14, 2, v50 bitop3:0x14
	v_pk_add_f32 v[24:25], v[26:27], v[6:7]
	s_delay_alu instid0(VALU_DEP_4) | instskip(NEXT) | instid1(VALU_DEP_3)
	v_dual_lshlrev_b32 v28, 2, v1 :: v_dual_bitop2_b32 v1, 1, v0 bitop3:0x40
	v_cmp_gt_i32_e64 s1, 32, v14
	v_pk_add_f32 v[26:27], v[26:27], v[6:7] neg_lo:[0,1] neg_hi:[0,1]
	v_pk_add_f32 v[6:7], v[30:31], v[16:17]
	ds_bpermute_b32 v48, v28, v40
	ds_bpermute_b32 v49, v28, v41
	v_cmp_eq_u32_e64 s8, 0, v1
	v_dual_cndmask_b32 v1, v50, v14, s1 :: v_dual_sub_f32 v51, v37, v36
	v_pk_add_f32 v[22:23], v[30:31], v[16:17] neg_lo:[0,1] neg_hi:[0,1]
	ds_bpermute_b32 v31, v28, v29
	v_dual_cndmask_b32 v13, -v41, v41, s8 :: v_dual_cndmask_b32 v12, -v40, v40, s8
	ds_bpermute_b32 v30, v28, v51
	v_lshlrev_b32_e32 v1, 2, v1
	v_pk_add_f32 v[20:21], v[34:35], v[18:19]
	v_pk_add_f32 v[18:19], v[34:35], v[18:19] neg_lo:[0,1] neg_hi:[0,1]
	v_and_b32_e32 v35, 2, v0
	v_and_b32_e32 v40, 4, v0
	;; [unrolled: 1-line block ×3, first 2 shown]
	s_wait_loadcnt_dscnt 0x0
	s_barrier_signal -1
	s_barrier_wait -1
	v_mov_b32_e32 v34, v11
	v_pk_add_f32 v[32:33], v[12:13], v[48:49]
	v_dual_mov_b32 v12, v9 :: v_dual_mov_b32 v13, v8
	s_wait_kmcnt 0x0
	s_mov_b32 s13, s12
	v_mov_b32_e32 v41, v43
	ds_bpermute_b32 v36, v1, v32
	ds_bpermute_b32 v37, v1, v33
	v_pk_add_f32 v[14:15], v[8:9], v[12:13]
	v_pk_add_f32 v[12:13], v[12:13], v[8:9] neg_lo:[0,1] neg_hi:[0,1]
	v_cndmask_b32_e64 v9, -v29, v29, s8
	v_pk_add_f32 v[16:17], v[10:11], v[34:35]
	v_pk_add_f32 v[10:11], v[10:11], v[34:35] neg_lo:[0,1] neg_hi:[0,1]
	v_cndmask_b32_e64 v8, -v51, v51, s8
	v_cmp_eq_u32_e64 s9, 0, v35
	v_dual_lshrrev_b32 v51, 3, v0 :: v_dual_bitop2_b32 v11, 4, v50 bitop3:0x14
	v_mov_b32_e32 v55, v27
	s_delay_alu instid0(VALU_DEP_4) | instskip(NEXT) | instid1(VALU_DEP_4)
	v_pk_add_f32 v[8:9], v[8:9], v[30:31]
	v_cndmask_b32_e64 v31, -v33, v33, s9
	s_delay_alu instid0(VALU_DEP_4)
	v_cmp_gt_i32_e64 s1, 32, v11
	v_dual_cndmask_b32 v30, -v32, v32, s9 :: v_dual_bitop2_b32 v12, 8, v50 bitop3:0x14
	ds_bpermute_b32 v32, v1, v8
	ds_bpermute_b32 v33, v1, v9
	v_cndmask_b32_e64 v11, v50, v11, s1
	v_cmp_gt_i32_e64 s1, 32, v12
	v_xor_b32_e32 v15, 16, v50
	s_wait_dscnt 0x2
	v_pk_add_f32 v[34:35], v[30:31], v[36:37]
	v_dual_mov_b32 v36, v39 :: v_dual_mov_b32 v37, v42
	v_cndmask_b32_e64 v12, v50, v12, s1
	v_cmp_eq_u32_e64 s1, 0, v40
	v_dual_mov_b32 v40, v38 :: v_dual_lshlrev_b32 v11, 2, v11
	v_cmp_gt_i32_e64 s10, 32, v15
	v_and_b32_e32 v17, 8, v0
	v_lshlrev_b32_e32 v31, 2, v12
	s_delay_alu instid0(VALU_DEP_4)
	v_pk_add_f32 v[36:37], v[40:41], v[36:37]
	v_dual_sub_f32 v30, v39, v38 :: v_dual_cndmask_b32 v9, -v9, v9, s9
	v_dual_cndmask_b32 v12, v50, v15, s10 :: v_dual_sub_f32 v15, v43, v42
	ds_bpermute_b32 v38, v28, v36
	ds_bpermute_b32 v39, v28, v37
	;; [unrolled: 1-line block ×3, first 2 shown]
	v_dual_cndmask_b32 v8, -v8, v8, s9 :: v_dual_cndmask_b32 v37, -v37, v37, s8
	ds_bpermute_b32 v41, v28, v15
	v_dual_lshlrev_b32 v29, 2, v12 :: v_dual_cndmask_b32 v49, -v15, v15, s8
	s_wait_dscnt 0x4
	v_pk_add_f32 v[8:9], v[8:9], v[32:33]
	ds_bpermute_b32 v32, v11, v34
	ds_bpermute_b32 v33, v11, v35
	v_dual_cndmask_b32 v36, -v36, v36, s8 :: v_dual_cndmask_b32 v48, -v30, v30, s8
	ds_bpermute_b32 v42, v11, v8
	ds_bpermute_b32 v43, v11, v9
	v_dual_cndmask_b32 v35, -v35, v35, s1 :: v_dual_cndmask_b32 v34, -v34, v34, s1
	v_dual_lshrrev_b32 v12, 5, v0 :: v_dual_bitop2_b32 v50, 7, v0 bitop3:0x40
	v_cmp_eq_u32_e64 s10, 0, v17
	v_dual_cndmask_b32 v9, -v9, v9, s1 :: v_dual_cndmask_b32 v8, -v8, v8, s1
	s_wait_dscnt 0x6
	v_pk_add_f32 v[36:37], v[36:37], v[38:39]
	v_dual_lshlrev_b32 v15, 5, v50 :: v_dual_bitop2_b32 v12, v12, v0 bitop3:0x14
	s_wait_dscnt 0x4
	v_pk_add_f32 v[38:39], v[48:49], v[40:41]
	v_sub_f32_e32 v17, v45, v44
	ds_bpermute_b32 v40, v1, v36
	ds_bpermute_b32 v41, v1, v37
	v_lshl_add_u32 v30, v12, 4, 0
	ds_bpermute_b32 v48, v1, v38
	ds_bpermute_b32 v49, v1, v39
	s_wait_dscnt 0x6
	v_pk_add_f32 v[32:33], v[34:35], v[32:33]
	v_dual_cndmask_b32 v39, -v39, v39, s9 :: v_dual_cndmask_b32 v38, -v38, v38, s9
	s_wait_dscnt 0x4
	v_pk_add_f32 v[8:9], v[8:9], v[42:43]
	v_bitop3_b32 v12, v15, v50, v51 bitop3:0x36
	ds_bpermute_b32 v34, v31, v32
	ds_bpermute_b32 v35, v31, v33
	v_cndmask_b32_e64 v33, -v33, v33, s10
	v_dual_cndmask_b32 v37, -v37, v37, s9 :: v_dual_cndmask_b32 v36, -v36, v36, s9
	v_cndmask_b32_e64 v32, -v32, v32, s10
	v_dual_mov_b32 v50, v44 :: v_dual_mov_b32 v51, v47
	ds_bpermute_b32 v42, v31, v8
	ds_bpermute_b32 v43, v31, v9
	v_dual_cndmask_b32 v9, -v9, v9, s10 :: v_dual_cndmask_b32 v8, -v8, v8, s10
	s_wait_dscnt 0x6
	v_pk_add_f32 v[36:37], v[36:37], v[40:41]
	v_sub_f32_e32 v15, v47, v46
	s_wait_dscnt 0x4
	v_pk_add_f32 v[38:39], v[38:39], v[48:49]
	v_dual_mov_b32 v48, v45 :: v_dual_mov_b32 v49, v46
	ds_bpermute_b32 v40, v11, v36
	ds_bpermute_b32 v41, v11, v37
	;; [unrolled: 1-line block ×4, first 2 shown]
	v_pk_add_f32 v[48:49], v[50:51], v[48:49]
	s_wait_dscnt 0x6
	v_pk_add_f32 v[32:33], v[32:33], v[34:35]
	v_dual_cndmask_b32 v37, -v37, v37, s1 :: v_dual_cndmask_b32 v36, -v36, v36, s1
	v_dual_cndmask_b32 v39, -v39, v39, s1 :: v_dual_cndmask_b32 v38, -v38, v38, s1
	ds_bpermute_b32 v34, v28, v48
	ds_bpermute_b32 v35, v28, v49
	s_wait_dscnt 0x6
	v_pk_add_f32 v[8:9], v[8:9], v[42:43]
	ds_bpermute_b32 v42, v28, v17
	ds_bpermute_b32 v43, v28, v15
	v_dual_cndmask_b32 v49, -v49, v49, s8 :: v_dual_cndmask_b32 v48, -v48, v48, s8
	v_cmp_eq_u32_e64 s11, 0, v54
	v_mov_b32_e32 v54, v24
	ds_bpermute_b32 v44, v29, v8
	ds_bpermute_b32 v45, v29, v9
	s_wait_dscnt 0x8
	v_pk_add_f32 v[36:37], v[36:37], v[40:41]
	ds_bpermute_b32 v41, v29, v33
	s_wait_dscnt 0x7
	v_pk_add_f32 v[38:39], v[38:39], v[52:53]
	v_dual_cndmask_b32 v53, -v15, v15, s8 :: v_dual_cndmask_b32 v52, -v17, v17, s8
	ds_bpermute_b32 v46, v31, v36
	ds_bpermute_b32 v47, v31, v37
	;; [unrolled: 1-line block ×4, first 2 shown]
	v_dual_cndmask_b32 v33, -v33, v33, s11 :: v_dual_cndmask_b32 v36, -v36, v36, s10
	s_wait_dscnt 0x9
	v_pk_add_f32 v[34:35], v[48:49], v[34:35]
	v_dual_cndmask_b32 v37, -v37, v37, s10 :: v_dual_cndmask_b32 v39, -v39, v39, s10
	s_wait_dscnt 0x7
	v_pk_add_f32 v[42:43], v[52:53], v[42:43]
	ds_bpermute_b32 v40, v29, v32
	ds_bpermute_b32 v48, v1, v34
	;; [unrolled: 1-line block ×3, first 2 shown]
	v_dual_cndmask_b32 v35, -v35, v35, s9 :: v_dual_cndmask_b32 v34, -v34, v34, s9
	ds_bpermute_b32 v52, v1, v42
	ds_bpermute_b32 v53, v1, v43
	v_dual_cndmask_b32 v38, -v38, v38, s10 :: v_dual_cndmask_b32 v32, -v32, v32, s11
	v_dual_sub_f32 v15, v27, v26 :: v_dual_sub_f32 v17, v25, v24
	s_wait_dscnt 0x7
	v_pk_add_f32 v[36:37], v[36:37], v[46:47]
	v_dual_cndmask_b32 v43, -v43, v43, s9 :: v_dual_cndmask_b32 v42, -v42, v42, s9
	s_wait_dscnt 0x5
	v_pk_add_f32 v[38:39], v[38:39], v[50:51]
	ds_bpermute_b32 v60, v28, v17
	ds_bpermute_b32 v46, v29, v36
	;; [unrolled: 1-line block ×6, first 2 shown]
	v_dual_cndmask_b32 v37, -v37, v37, s11 :: v_dual_cndmask_b32 v36, -v36, v36, s11
	s_wait_dscnt 0x8
	v_pk_add_f32 v[48:49], v[34:35], v[48:49]
	v_dual_mov_b32 v34, v25 :: v_dual_mov_b32 v35, v26
	s_wait_dscnt 0x6
	v_pk_add_f32 v[42:43], v[42:43], v[52:53]
	v_dual_cndmask_b32 v9, -v9, v9, s11 :: v_dual_cndmask_b32 v8, -v8, v8, s11
	ds_bpermute_b32 v52, v11, v48
	v_pk_add_f32 v[54:55], v[54:55], v[34:35]
	ds_bpermute_b32 v53, v11, v49
	v_dual_cndmask_b32 v35, -v39, v39, s11 :: v_dual_cndmask_b32 v34, -v38, v38, s11
	v_pk_add_f32 v[24:25], v[32:33], v[40:41]
	ds_bpermute_b32 v58, v28, v54
	ds_bpermute_b32 v59, v28, v55
	s_wait_dscnt 0x7
	v_pk_add_f32 v[32:33], v[36:37], v[46:47]
	v_dual_cndmask_b32 v37, -v43, v43, s1 :: v_dual_cndmask_b32 v38, -v54, v54, s8
	v_dual_cndmask_b32 v39, -v55, v55, s8 :: v_dual_cndmask_b32 v36, -v42, v42, s1
	;; [unrolled: 1-line block ×3, first 2 shown]
	v_pk_add_f32 v[26:27], v[8:9], v[44:45]
	v_dual_cndmask_b32 v9, -v49, v49, s1 :: v_dual_cndmask_b32 v8, -v48, v48, s1
	ds_bpermute_b32 v56, v11, v42
	s_wait_dscnt 0x7
	v_pk_add_f32 v[40:41], v[40:41], v[60:61]
	ds_bpermute_b32 v57, v11, v43
	s_wait_dscnt 0x6
	v_pk_add_f32 v[34:35], v[34:35], v[50:51]
	s_wait_dscnt 0x4
	v_pk_add_f32 v[8:9], v[8:9], v[52:53]
	v_dual_sub_f32 v15, v5, v4 :: v_dual_sub_f32 v17, v3, v2
	ds_bpermute_b32 v50, v1, v40
	ds_bpermute_b32 v51, v1, v41
	s_wait_dscnt 0x4
	v_pk_add_f32 v[38:39], v[38:39], v[58:59]
	ds_bpermute_b32 v42, v31, v8
	ds_bpermute_b32 v43, v31, v9
	v_dual_mov_b32 v46, v3 :: v_dual_mov_b32 v47, v4
	ds_bpermute_b32 v44, v1, v38
	ds_bpermute_b32 v45, v1, v39
	v_dual_mov_b32 v48, v2 :: v_dual_mov_b32 v49, v5
	v_dual_cndmask_b32 v5, -v39, v39, s9 :: v_dual_cndmask_b32 v4, -v38, v38, s9
	ds_bpermute_b32 v38, v28, v17
	ds_bpermute_b32 v39, v28, v15
	v_pk_add_f32 v[46:47], v[48:49], v[46:47]
	v_dual_cndmask_b32 v41, -v41, v41, s9 :: v_dual_cndmask_b32 v40, -v40, v40, s9
	s_wait_dscnt 0x8
	v_pk_add_f32 v[36:37], v[36:37], v[56:57]
	v_dual_cndmask_b32 v9, -v9, v9, s10 :: v_dual_cndmask_b32 v8, -v8, v8, s10
	ds_bpermute_b32 v2, v28, v46
	ds_bpermute_b32 v3, v28, v47
	s_wait_dscnt 0x8
	v_pk_add_f32 v[40:41], v[40:41], v[50:51]
	ds_bpermute_b32 v52, v31, v36
	ds_bpermute_b32 v53, v31, v37
	s_wait_dscnt 0x8
	v_pk_add_f32 v[8:9], v[8:9], v[42:43]
	v_dual_cndmask_b32 v49, -v15, v15, s8 :: v_dual_cndmask_b32 v48, -v17, v17, s8
	s_wait_dscnt 0x6
	v_pk_add_f32 v[4:5], v[4:5], v[44:45]
	v_dual_cndmask_b32 v45, -v47, v47, s8 :: v_dual_cndmask_b32 v44, -v46, v46, s8
	ds_bpermute_b32 v46, v11, v40
	ds_bpermute_b32 v47, v11, v41
	;; [unrolled: 1-line block ×4, first 2 shown]
	s_wait_dscnt 0x8
	v_pk_add_f32 v[38:39], v[48:49], v[38:39]
	v_dual_cndmask_b32 v37, -v37, v37, s10 :: v_dual_cndmask_b32 v36, -v36, v36, s10
	v_dual_cndmask_b32 v5, -v5, v5, s1 :: v_dual_cndmask_b32 v4, -v4, v4, s1
	ds_bpermute_b32 v50, v1, v38
	ds_bpermute_b32 v51, v1, v39
	s_wait_dscnt 0x8
	v_pk_add_f32 v[2:3], v[44:45], v[2:3]
	v_dual_cndmask_b32 v41, -v41, v41, s1 :: v_dual_cndmask_b32 v40, -v40, v40, s1
	s_wait_dscnt 0x6
	v_pk_add_f32 v[36:37], v[36:37], v[52:53]
	ds_bpermute_b32 v44, v29, v8
	ds_bpermute_b32 v48, v1, v2
	;; [unrolled: 1-line block ×4, first 2 shown]
	v_dual_cndmask_b32 v2, -v2, v2, s9 :: v_dual_cndmask_b32 v39, -v39, v39, s9
	s_wait_dscnt 0x8
	v_pk_add_f32 v[40:41], v[40:41], v[46:47]
	v_dual_cndmask_b32 v38, -v38, v38, s9 :: v_dual_cndmask_b32 v8, -v8, v8, s11
	s_wait_dscnt 0x6
	v_pk_add_f32 v[4:5], v[4:5], v[42:43]
	ds_bpermute_b32 v42, v29, v36
	ds_bpermute_b32 v43, v29, v37
	;; [unrolled: 1-line block ×6, first 2 shown]
	s_wait_dscnt 0xa
	v_pk_add_f32 v[38:39], v[38:39], v[50:51]
	v_dual_cndmask_b32 v9, -v9, v9, s11 :: v_dual_cndmask_b32 v3, -v3, v3, s9
	v_dual_cndmask_b32 v37, -v37, v37, s11 :: v_dual_cndmask_b32 v36, -v36, v36, s11
	ds_bpermute_b32 v54, v11, v38
	ds_bpermute_b32 v55, v11, v39
	s_wait_dscnt 0x9
	v_pk_add_f32 v[48:49], v[2:3], v[48:49]
	v_dual_cndmask_b32 v3, -v5, v5, s10 :: v_dual_cndmask_b32 v2, -v4, v4, s10
	v_dual_cndmask_b32 v41, -v41, v41, s10 :: v_dual_cndmask_b32 v40, -v40, v40, s10
	ds_bpermute_b32 v50, v11, v48
	ds_bpermute_b32 v51, v11, v49
	ds_store_b128 v30, v[24:27]
	ds_store_b128 v30, v[32:35] offset:4096
	s_wait_dscnt 0xa
	v_pk_add_f32 v[4:5], v[36:37], v[42:43]
	v_dual_cndmask_b32 v35, -v39, v39, s1 :: v_dual_cndmask_b32 v34, -v38, v38, s1
	v_dual_mov_b32 v36, v7 :: v_dual_mov_b32 v37, v22
	s_wait_dscnt 0x6
	v_pk_add_f32 v[46:47], v[2:3], v[46:47]
	v_pk_add_f32 v[2:3], v[8:9], v[44:45]
	;; [unrolled: 1-line block ×3, first 2 shown]
	v_dual_mov_b32 v38, v6 :: v_dual_mov_b32 v39, v23
	ds_bpermute_b32 v24, v29, v46
	ds_bpermute_b32 v25, v29, v47
	;; [unrolled: 1-line block ×4, first 2 shown]
	v_pk_add_f32 v[36:37], v[38:39], v[36:37]
	s_wait_dscnt 0x8
	v_pk_add_f32 v[34:35], v[34:35], v[54:55]
	v_dual_cndmask_b32 v27, -v49, v49, s1 :: v_dual_cndmask_b32 v26, -v48, v48, s1
	v_dual_sub_f32 v15, v23, v22 :: v_dual_cndmask_b32 v9, -v9, v9, s11
	ds_bpermute_b32 v42, v28, v36
	ds_bpermute_b32 v43, v28, v37
	;; [unrolled: 1-line block ×4, first 2 shown]
	s_wait_dscnt 0xa
	v_pk_add_f32 v[26:27], v[26:27], v[50:51]
	v_dual_sub_f32 v17, v7, v6 :: v_dual_cndmask_b32 v8, -v8, v8, s11
	v_dual_cndmask_b32 v7, -v47, v47, s11 :: v_dual_cndmask_b32 v6, -v46, v46, s11
	ds_bpermute_b32 v40, v31, v26
	ds_bpermute_b32 v41, v31, v27
	;; [unrolled: 1-line block ×4, first 2 shown]
	s_wait_dscnt 0x8
	v_pk_add_f32 v[8:9], v[8:9], v[32:33]
	v_dual_cndmask_b32 v33, -v37, v37, s8 :: v_dual_cndmask_b32 v32, -v36, v36, s8
	v_pk_add_f32 v[6:7], v[6:7], v[24:25]
	v_dual_cndmask_b32 v25, -v35, v35, s10 :: v_dual_cndmask_b32 v24, -v34, v34, s10
	v_dual_cndmask_b32 v23, -v27, v27, s10 :: v_dual_cndmask_b32 v22, -v26, v26, s10
	s_wait_dscnt 0x6
	v_pk_add_f32 v[32:33], v[32:33], v[42:43]
	v_dual_cndmask_b32 v37, -v15, v15, s8 :: v_dual_cndmask_b32 v36, -v17, v17, s8
	s_wait_dscnt 0x4
	v_pk_add_f32 v[34:35], v[24:25], v[38:39]
	v_dual_mov_b32 v42, v20 :: v_dual_mov_b32 v43, v19
	ds_bpermute_b32 v38, v1, v32
	ds_bpermute_b32 v39, v1, v33
	v_cndmask_b32_e64 v33, -v33, v33, s9
	s_wait_dscnt 0x4
	v_pk_add_f32 v[26:27], v[22:23], v[40:41]
	v_dual_mov_b32 v40, v21 :: v_dual_mov_b32 v41, v18
	s_wait_dscnt 0x2
	v_pk_add_f32 v[36:37], v[36:37], v[44:45]
	v_dual_cndmask_b32 v32, -v32, v32, s9 :: v_dual_sub_f32 v47, v19, v18
	ds_bpermute_b32 v23, v29, v27
	v_cndmask_b32_e64 v27, -v27, v27, s11
	v_pk_add_f32 v[40:41], v[42:43], v[40:41]
	v_dual_sub_f32 v46, v21, v20 :: v_dual_mov_b32 v15, v10
	v_mov_b32_e32 v17, v13
	ds_bpermute_b32 v44, v1, v36
	v_dual_cndmask_b32 v19, -v37, v37, s9 :: v_dual_cndmask_b32 v18, -v36, v36, s9
	ds_bpermute_b32 v20, v28, v40
	ds_bpermute_b32 v21, v28, v41
	v_cndmask_b32_e64 v36, -v40, v40, s8
	s_wait_dscnt 0x4
	v_pk_add_f32 v[32:33], v[32:33], v[38:39]
	v_pk_add_f32 v[38:39], v[16:17], v[14:15]
	v_dual_sub_f32 v48, v14, v16 :: v_dual_sub_f32 v10, v13, v10
	ds_bpermute_b32 v42, v28, v46
	ds_bpermute_b32 v43, v28, v47
	;; [unrolled: 1-line block ×3, first 2 shown]
	v_dual_cndmask_b32 v37, -v41, v41, s8 :: v_dual_cndmask_b32 v15, -v47, v47, s8
	ds_bpermute_b32 v16, v28, v38
	ds_bpermute_b32 v17, v28, v39
	;; [unrolled: 1-line block ×4, first 2 shown]
	v_dual_cndmask_b32 v14, -v46, v46, s8 :: v_dual_cndmask_b32 v39, -v39, v39, s8
	v_dual_cndmask_b32 v38, -v38, v38, s8 :: v_dual_cndmask_b32 v48, -v48, v48, s8
	v_cndmask_b32_e64 v49, -v10, v10, s8
	s_wait_dscnt 0x7
	v_pk_add_f32 v[20:21], v[36:37], v[20:21]
	ds_bpermute_b32 v22, v29, v26
	v_cndmask_b32_e64 v26, -v26, v26, s11
	ds_bpermute_b32 v25, v29, v35
	ds_bpermute_b32 v24, v29, v34
	v_lshl_add_u32 v10, v12, 4, 0
	s_wait_dscnt 0x8
	v_pk_add_f32 v[14:15], v[14:15], v[42:43]
	s_wait_dscnt 0x7
	v_pk_add_f32 v[18:19], v[18:19], v[44:45]
	ds_bpermute_b32 v44, v11, v32
	ds_bpermute_b32 v45, v11, v33
	;; [unrolled: 1-line block ×4, first 2 shown]
	v_cndmask_b32_e64 v33, -v33, v33, s1
	s_wait_dscnt 0x9
	v_pk_add_f32 v[16:17], v[38:39], v[16:17]
	s_wait_dscnt 0x7
	v_pk_add_f32 v[38:39], v[48:49], v[40:41]
	ds_bpermute_b32 v46, v1, v14
	ds_bpermute_b32 v47, v1, v15
	;; [unrolled: 1-line block ×8, first 2 shown]
	v_dual_cndmask_b32 v32, -v32, v32, s1 :: v_dual_cndmask_b32 v21, -v21, v21, s9
	v_dual_cndmask_b32 v20, -v20, v20, s9 :: v_dual_cndmask_b32 v15, -v15, v15, s9
	;; [unrolled: 1-line block ×4, first 2 shown]
	v_cndmask_b32_e64 v17, -v17, v17, s9
	s_wait_dscnt 0x8
	v_pk_add_f32 v[20:21], v[20:21], v[42:43]
	v_pk_add_f32 v[32:33], v[32:33], v[44:45]
	v_dual_cndmask_b32 v16, -v16, v16, s9 :: v_dual_cndmask_b32 v39, -v39, v39, s9
	v_cndmask_b32_e64 v38, -v38, v38, s9
	s_wait_dscnt 0x6
	v_pk_add_f32 v[14:15], v[14:15], v[46:47]
	s_wait_dscnt 0x4
	v_pk_add_f32 v[18:19], v[18:19], v[36:37]
	ds_bpermute_b32 v36, v11, v20
	ds_bpermute_b32 v37, v11, v21
	s_wait_dscnt 0x4
	v_pk_add_f32 v[16:17], v[16:17], v[40:41]
	ds_bpermute_b32 v41, v31, v33
	v_cndmask_b32_e64 v33, -v33, v33, s10
	s_wait_dscnt 0x3
	v_pk_add_f32 v[38:39], v[38:39], v[48:49]
	ds_bpermute_b32 v42, v11, v14
	ds_bpermute_b32 v43, v11, v15
	;; [unrolled: 1-line block ×7, first 2 shown]
	v_dual_cndmask_b32 v21, -v21, v21, s1 :: v_dual_cndmask_b32 v20, -v20, v20, s1
	v_dual_cndmask_b32 v15, -v15, v15, s1 :: v_dual_cndmask_b32 v14, -v14, v14, s1
	ds_bpermute_b32 v44, v31, v18
	v_dual_cndmask_b32 v18, -v18, v18, s10 :: v_dual_cndmask_b32 v17, -v17, v17, s1
	v_cndmask_b32_e64 v16, -v16, v16, s1
	s_wait_dscnt 0x9
	v_pk_add_f32 v[20:21], v[20:21], v[36:37]
	v_dual_cndmask_b32 v37, -v39, v39, s1 :: v_dual_cndmask_b32 v36, -v38, v38, s1
	v_cndmask_b32_e64 v32, -v32, v32, s10
	ds_bpermute_b32 v45, v31, v19
	ds_bpermute_b32 v39, v31, v21
	s_wait_dscnt 0x8
	v_pk_add_f32 v[14:15], v[14:15], v[42:43]
	v_cndmask_b32_e64 v21, -v21, v21, s10
	s_wait_dscnt 0x6
	v_pk_add_f32 v[16:17], v[16:17], v[46:47]
	v_cndmask_b32_e64 v19, -v19, v19, s10
	s_wait_dscnt 0x4
	v_pk_add_f32 v[36:37], v[36:37], v[48:49]
	ds_bpermute_b32 v38, v31, v20
	s_wait_dscnt 0x4
	v_pk_add_f32 v[32:33], v[32:33], v[40:41]
	ds_bpermute_b32 v40, v31, v14
	ds_bpermute_b32 v41, v31, v15
	;; [unrolled: 1-line block ×6, first 2 shown]
	v_dual_cndmask_b32 v34, -v34, v34, s11 :: v_dual_cndmask_b32 v20, -v20, v20, s10
	v_dual_cndmask_b32 v15, -v15, v15, s10 :: v_dual_cndmask_b32 v14, -v14, v14, s10
	;; [unrolled: 1-line block ×4, first 2 shown]
	s_wait_dscnt 0x8
	v_pk_add_f32 v[18:19], v[18:19], v[44:45]
	ds_bpermute_b32 v44, v29, v32
	ds_bpermute_b32 v45, v29, v33
	v_dual_cndmask_b32 v33, -v33, v33, s11 :: v_dual_cndmask_b32 v32, -v32, v32, s11
	s_wait_dscnt 0x8
	v_pk_add_f32 v[20:21], v[20:21], v[38:39]
	ds_bpermute_b32 v48, v29, v18
	s_wait_dscnt 0x7
	v_pk_add_f32 v[38:39], v[14:15], v[40:41]
	ds_bpermute_b32 v49, v29, v19
	;; [unrolled: 3-line block ×4, first 2 shown]
	ds_bpermute_b32 v46, v29, v38
	ds_bpermute_b32 v47, v29, v39
	ds_bpermute_b32 v50, v29, v42
	ds_bpermute_b32 v51, v29, v43
	ds_bpermute_b32 v52, v29, v36
	ds_bpermute_b32 v53, v29, v37
	v_pk_add_f32 v[14:15], v[26:27], v[22:23]
	v_dual_cndmask_b32 v23, -v19, v19, s11 :: v_dual_cndmask_b32 v22, -v18, v18, s11
	v_pk_add_f32 v[16:17], v[34:35], v[24:25]
	v_dual_cndmask_b32 v25, -v21, v21, s11 :: v_dual_cndmask_b32 v24, -v20, v20, s11
	v_dual_cndmask_b32 v27, -v39, v39, s11 :: v_dual_cndmask_b32 v26, -v38, v38, s11
	s_wait_dscnt 0xa
	v_pk_add_f32 v[18:19], v[32:33], v[44:45]
	v_dual_cndmask_b32 v33, -v43, v43, s11 :: v_dual_cndmask_b32 v32, -v42, v42, s11
	v_dual_cndmask_b32 v35, -v37, v37, s11 :: v_dual_cndmask_b32 v34, -v36, v36, s11
	s_wait_dscnt 0x8
	v_pk_add_f32 v[20:21], v[22:23], v[48:49]
	s_wait_dscnt 0x6
	v_pk_add_f32 v[22:23], v[24:25], v[40:41]
	;; [unrolled: 2-line block ×5, first 2 shown]
	ds_store_b128 v30, v[2:5] offset:8192
	ds_store_b128 v30, v[6:9] offset:12288
	;; [unrolled: 1-line block ×6, first 2 shown]
	s_wait_dscnt 0x0
	s_barrier_signal -1
	s_barrier_wait -1
	ds_load_b128 v[2:5], v10
	ds_load_b128 v[6:9], v10 offset:4096
	s_wait_dscnt 0x1
	ds_bpermute_b32 v14, v28, v4
	ds_bpermute_b32 v15, v28, v5
	;; [unrolled: 1-line block ×4, first 2 shown]
	v_dual_cndmask_b32 v5, -v5, v5, s8 :: v_dual_cndmask_b32 v4, -v4, v4, s8
	v_dual_cndmask_b32 v3, -v3, v3, s8 :: v_dual_cndmask_b32 v2, -v2, v2, s8
	s_wait_dscnt 0x4
	ds_bpermute_b32 v18, v28, v8
	ds_bpermute_b32 v19, v28, v9
	;; [unrolled: 1-line block ×4, first 2 shown]
	v_dual_cndmask_b32 v9, -v9, v9, s8 :: v_dual_cndmask_b32 v8, -v8, v8, s8
	v_dual_cndmask_b32 v7, -v7, v7, s8 :: v_dual_cndmask_b32 v6, -v6, v6, s8
	s_wait_dscnt 0x6
	v_pk_add_f32 v[14:15], v[4:5], v[14:15]
	s_wait_dscnt 0x4
	v_pk_add_f32 v[12:13], v[2:3], v[12:13]
	ds_load_b128 v[2:5], v10 offset:8192
	ds_bpermute_b32 v20, v1, v14
	ds_bpermute_b32 v21, v1, v15
	;; [unrolled: 1-line block ×4, first 2 shown]
	v_dual_cndmask_b32 v15, -v15, v15, s9 :: v_dual_cndmask_b32 v14, -v14, v14, s9
	s_wait_dscnt 0x7
	v_pk_add_f32 v[8:9], v[8:9], v[18:19]
	s_wait_dscnt 0x5
	v_pk_add_f32 v[6:7], v[6:7], v[22:23]
	v_dual_cndmask_b32 v13, -v13, v13, s9 :: v_dual_cndmask_b32 v12, -v12, v12, s9
	ds_bpermute_b32 v26, v1, v6
	ds_bpermute_b32 v27, v1, v7
	v_dual_cndmask_b32 v7, -v7, v7, s9 :: v_dual_cndmask_b32 v6, -v6, v6, s9
	s_wait_dscnt 0x4
	v_pk_add_f32 v[18:19], v[14:15], v[20:21]
	ds_bpermute_b32 v20, v1, v8
	ds_bpermute_b32 v21, v1, v9
	s_wait_dscnt 0x4
	v_pk_add_f32 v[16:17], v[12:13], v[16:17]
	ds_load_b128 v[12:15], v10 offset:12288
	ds_bpermute_b32 v24, v11, v18
	ds_bpermute_b32 v32, v28, v2
	;; [unrolled: 1-line block ×8, first 2 shown]
	v_dual_cndmask_b32 v9, -v9, v9, s9 :: v_dual_cndmask_b32 v8, -v8, v8, s9
	v_dual_cndmask_b32 v19, -v19, v19, s1 :: v_dual_cndmask_b32 v18, -v18, v18, s1
	;; [unrolled: 1-line block ×4, first 2 shown]
	s_wait_dscnt 0xb
	v_pk_add_f32 v[6:7], v[6:7], v[26:27]
	s_wait_dscnt 0x9
	v_pk_add_f32 v[8:9], v[8:9], v[20:21]
	v_dual_cndmask_b32 v17, -v17, v17, s1 :: v_dual_cndmask_b32 v16, -v16, v16, s1
	s_wait_dscnt 0x8
	ds_bpermute_b32 v38, v28, v12
	ds_bpermute_b32 v39, v28, v13
	ds_bpermute_b32 v20, v11, v8
	ds_bpermute_b32 v21, v11, v9
	s_wait_dscnt 0x9
	v_pk_add_f32 v[26:27], v[2:3], v[32:33]
	s_wait_dscnt 0x7
	v_pk_add_f32 v[32:33], v[4:5], v[34:35]
	;; [unrolled: 2-line block ×3, first 2 shown]
	ds_bpermute_b32 v24, v11, v6
	ds_bpermute_b32 v25, v11, v7
	;; [unrolled: 1-line block ×8, first 2 shown]
	s_wait_dscnt 0xc
	v_pk_add_f32 v[2:3], v[16:17], v[22:23]
	ds_load_b128 v[16:19], v10 offset:16384
	v_dual_cndmask_b32 v9, -v9, v9, s1 :: v_dual_cndmask_b32 v8, -v8, v8, s1
	v_dual_cndmask_b32 v7, -v7, v7, s1 :: v_dual_cndmask_b32 v6, -v6, v6, s1
	v_dual_cndmask_b32 v13, -v13, v13, s8 :: v_dual_cndmask_b32 v12, -v12, v12, s8
	v_dual_cndmask_b32 v15, -v15, v15, s8 :: v_dual_cndmask_b32 v14, -v14, v14, s8
	s_wait_dscnt 0x9
	v_pk_add_f32 v[8:9], v[8:9], v[20:21]
	v_dual_cndmask_b32 v21, -v27, v27, s9 :: v_dual_cndmask_b32 v23, -v33, v33, s9
	v_dual_cndmask_b32 v22, -v32, v32, s9 :: v_dual_cndmask_b32 v20, -v26, v26, s9
	v_pk_add_f32 v[26:27], v[12:13], v[38:39]
	s_wait_dscnt 0x7
	v_pk_add_f32 v[6:7], v[6:7], v[24:25]
	s_wait_dscnt 0x5
	;; [unrolled: 2-line block ×4, first 2 shown]
	v_pk_add_f32 v[20:21], v[20:21], v[34:35]
	ds_bpermute_b32 v32, v1, v26
	ds_bpermute_b32 v33, v1, v27
	;; [unrolled: 1-line block ×4, first 2 shown]
	ds_load_b128 v[12:15], v10 offset:20480
	s_wait_dscnt 0x5
	ds_bpermute_b32 v36, v28, v16
	ds_bpermute_b32 v37, v28, v17
	;; [unrolled: 1-line block ×5, first 2 shown]
	v_dual_cndmask_b32 v22, -v22, v22, s1 :: v_dual_cndmask_b32 v27, -v27, v27, s9
	v_dual_cndmask_b32 v26, -v26, v26, s9 :: v_dual_cndmask_b32 v25, -v25, v25, s9
	;; [unrolled: 1-line block ×5, first 2 shown]
	ds_bpermute_b32 v43, v11, v23
	s_wait_dscnt 0x9
	v_pk_add_f32 v[26:27], v[26:27], v[32:33]
	ds_bpermute_b32 v38, v11, v20
	s_wait_dscnt 0x8
	v_pk_add_f32 v[24:25], v[24:25], v[34:35]
	ds_bpermute_b32 v39, v11, v21
	v_dual_cndmask_b32 v45, -v21, v21, s1 :: v_dual_cndmask_b32 v23, -v23, v23, s1
	s_wait_dscnt 0x6
	v_pk_add_f32 v[16:17], v[16:17], v[36:37]
	s_wait_dscnt 0x4
	v_pk_add_f32 v[34:35], v[18:19], v[40:41]
	ds_bpermute_b32 v32, v11, v26
	ds_bpermute_b32 v33, v11, v27
	;; [unrolled: 1-line block ×8, first 2 shown]
	v_cndmask_b32_e64 v25, -v25, v25, s1
	ds_bpermute_b32 v48, v28, v12
	ds_bpermute_b32 v49, v28, v13
	s_wait_dscnt 0xc
	v_pk_add_f32 v[18:19], v[22:23], v[42:43]
	v_dual_cndmask_b32 v43, -v27, v27, s1 :: v_dual_cndmask_b32 v42, -v26, v26, s1
	v_dual_cndmask_b32 v27, -v17, v17, s9 :: v_dual_cndmask_b32 v24, -v24, v24, s1
	;; [unrolled: 1-line block ×3, first 2 shown]
	v_cndmask_b32_e64 v34, -v34, v34, s9
	ds_load_b128 v[20:23], v10 offset:24576
	s_wait_dscnt 0xb
	v_pk_add_f32 v[16:17], v[44:45], v[38:39]
	ds_bpermute_b32 v50, v28, v14
	v_dual_cndmask_b32 v13, -v13, v13, s8 :: v_dual_cndmask_b32 v14, -v14, v14, s8
	v_cndmask_b32_e64 v12, -v12, v12, s8
	s_wait_dscnt 0x7
	v_pk_add_f32 v[38:39], v[26:27], v[40:41]
	s_wait_dscnt 0x6
	v_pk_add_f32 v[26:27], v[24:25], v[36:37]
	v_pk_add_f32 v[24:25], v[42:43], v[32:33]
	s_wait_dscnt 0x4
	v_pk_add_f32 v[36:37], v[34:35], v[46:47]
	ds_load_b128 v[32:35], v10 offset:28672
	ds_bpermute_b32 v51, v28, v15
	v_cndmask_b32_e64 v15, -v15, v15, s8
	s_wait_dscnt 0x4
	v_pk_add_f32 v[12:13], v[12:13], v[48:49]
	ds_bpermute_b32 v40, v11, v38
	ds_bpermute_b32 v41, v11, v39
	;; [unrolled: 1-line block ×6, first 2 shown]
	s_wait_dscnt 0x9
	ds_bpermute_b32 v44, v28, v20
	ds_bpermute_b32 v46, v28, v22
	;; [unrolled: 1-line block ×4, first 2 shown]
	v_dual_cndmask_b32 v13, -v13, v13, s9 :: v_dual_cndmask_b32 v23, -v23, v23, s8
	v_dual_cndmask_b32 v21, -v21, v21, s8 :: v_dual_cndmask_b32 v22, -v22, v22, s8
	;; [unrolled: 1-line block ×3, first 2 shown]
	s_wait_dscnt 0xb
	ds_bpermute_b32 v52, v28, v32
	ds_bpermute_b32 v53, v28, v33
	;; [unrolled: 1-line block ×4, first 2 shown]
	s_wait_dscnt 0xe
	v_pk_add_f32 v[14:15], v[14:15], v[50:51]
	v_cndmask_b32_e64 v20, -v20, v20, s8
	v_dual_cndmask_b32 v12, -v12, v12, s9 :: v_dual_cndmask_b32 v29, -v33, v33, s8
	v_dual_cndmask_b32 v28, -v32, v32, s8 :: v_dual_cndmask_b32 v33, -v35, v35, s8
	v_cndmask_b32_e64 v32, -v34, v34, s8
	ds_bpermute_b32 v51, v1, v15
	v_cndmask_b32_e64 v15, -v15, v15, s9
	s_wait_dscnt 0x6
	v_pk_add_f32 v[22:23], v[22:23], v[46:47]
	s_wait_dscnt 0x5
	v_pk_add_f32 v[20:21], v[20:21], v[44:45]
	ds_bpermute_b32 v50, v1, v14
	v_cndmask_b32_e64 v14, -v14, v14, s9
	v_pk_add_f32 v[44:45], v[12:13], v[48:49]
	v_dual_cndmask_b32 v37, -v37, v37, s1 :: v_dual_cndmask_b32 v36, -v36, v36, s1
	ds_bpermute_b32 v34, v1, v20
	s_wait_dscnt 0x5
	v_pk_add_f32 v[28:29], v[28:29], v[52:53]
	ds_bpermute_b32 v35, v1, v21
	s_wait_dscnt 0x4
	v_pk_add_f32 v[12:13], v[32:33], v[54:55]
	ds_bpermute_b32 v32, v1, v22
	ds_bpermute_b32 v33, v1, v23
	;; [unrolled: 1-line block ×6, first 2 shown]
	v_dual_cndmask_b32 v21, -v21, v21, s9 :: v_dual_cndmask_b32 v20, -v20, v20, s9
	v_dual_cndmask_b32 v23, -v23, v23, s9 :: v_dual_cndmask_b32 v22, -v22, v22, s9
	;; [unrolled: 1-line block ×4, first 2 shown]
	s_wait_dscnt 0x8
	v_pk_add_f32 v[14:15], v[14:15], v[50:51]
	ds_bpermute_b32 v50, v11, v44
	ds_bpermute_b32 v51, v11, v45
	s_wait_dscnt 0x0
	v_pk_add_f32 v[20:21], v[20:21], v[34:35]
	ds_bpermute_b32 v52, v11, v14
	ds_bpermute_b32 v53, v11, v15
	v_pk_add_f32 v[32:33], v[22:23], v[32:33]
	v_dual_cndmask_b32 v23, -v15, v15, s1 :: v_dual_cndmask_b32 v22, -v14, v14, s1
	v_pk_add_f32 v[28:29], v[28:29], v[46:47]
	v_pk_add_f32 v[34:35], v[12:13], v[48:49]
	ds_bpermute_b32 v54, v11, v20
	ds_bpermute_b32 v55, v11, v21
	ds_bpermute_b32 v46, v11, v32
	ds_bpermute_b32 v47, v11, v33
	ds_bpermute_b32 v48, v11, v28
	ds_bpermute_b32 v56, v11, v34
	ds_bpermute_b32 v57, v11, v35
	ds_bpermute_b32 v49, v11, v29
	v_pk_add_f32 v[14:15], v[36:37], v[42:43]
	v_pk_add_f32 v[12:13], v[38:39], v[40:41]
	v_dual_cndmask_b32 v37, -v45, v45, s1 :: v_dual_cndmask_b32 v36, -v44, v44, s1
	v_dual_cndmask_b32 v39, -v21, v21, s1 :: v_dual_cndmask_b32 v38, -v20, v20, s1
	;; [unrolled: 1-line block ×5, first 2 shown]
	s_wait_dscnt 0x8
	v_pk_add_f32 v[22:23], v[22:23], v[52:53]
	v_pk_add_f32 v[20:21], v[36:37], v[50:51]
	s_barrier_signal -1
	s_wait_dscnt 0x4
	v_pk_add_f32 v[34:35], v[32:33], v[46:47]
	v_pk_add_f32 v[32:33], v[38:39], v[54:55]
	s_barrier_wait -1
	s_wait_dscnt 0x1
	v_pk_add_f32 v[38:39], v[40:41], v[56:57]
	s_wait_dscnt 0x0
	v_pk_add_f32 v[36:37], v[28:29], v[48:49]
	ds_store_b128 v10, v[2:5]
	ds_store_b128 v10, v[6:9] offset:4096
	ds_store_b128 v10, v[16:19] offset:8192
	ds_store_b128 v10, v[24:27] offset:12288
	ds_store_b128 v10, v[12:15] offset:16384
	ds_store_b128 v10, v[20:23] offset:20480
	ds_store_b128 v10, v[32:35] offset:24576
	ds_store_b128 v10, v[36:39] offset:28672
	s_wait_dscnt 0x0
	s_barrier_signal -1
	s_barrier_wait -1
	ds_load_b128 v[2:5], v30
	ds_load_b128 v[6:9], v30 offset:4096
	ds_load_b128 v[10:13], v30 offset:8192
	;; [unrolled: 1-line block ×7, first 2 shown]
	s_mul_u64 s[8:9], s[14:15], s[20:21]
	s_delay_alu instid0(SALU_CYCLE_1) | instskip(NEXT) | instid1(SALU_CYCLE_1)
	s_lshl_b64 s[8:9], s[8:9], 2
	s_add_nc_u64 s[8:9], s[18:19], s[8:9]
	s_wait_dscnt 0x6
	v_pk_add_f32 v[42:43], v[2:3], v[6:7]
	v_pk_add_f32 v[50:51], v[4:5], v[8:9]
	s_wait_dscnt 0x4
	v_pk_add_f32 v[44:45], v[10:11], v[14:15]
	v_pk_add_f32 v[52:53], v[12:13], v[16:17]
	;; [unrolled: 3-line block ×4, first 2 shown]
	v_pk_add_f32 v[34:35], v[42:43], v[44:45]
	v_pk_add_f32 v[38:39], v[50:51], v[52:53]
	s_delay_alu instid0(VALU_DEP_4) | instskip(NEXT) | instid1(VALU_DEP_4)
	v_pk_add_f32 v[36:37], v[46:47], v[48:49]
	v_pk_add_f32 v[40:41], v[54:55], v[56:57]
	s_and_saveexec_b32 s1, vcc_lo
	s_cbranch_execz .LBB10_18
; %bb.17:
	v_mov_b64_e32 v[60:61], s[12:13]
	v_pk_add_f32 v[58:59], v[34:35], v[36:37]
	v_pk_add_f32 v[70:71], v[38:39], v[40:41]
	s_delay_alu instid0(VALU_DEP_2) | instskip(NEXT) | instid1(VALU_DEP_2)
	v_pk_mul_f32 v[58:59], v[60:61], v[58:59]
	v_pk_mul_f32 v[60:61], v[60:61], v[70:71]
	global_store_b128 v0, v[58:61], s[8:9] scale_offset
.LBB10_18:
	s_wait_xcnt 0x0
	s_or_b32 exec_lo, exec_lo, s1
	v_pk_add_f32 v[58:59], v[2:3], v[6:7] neg_lo:[0,1] neg_hi:[0,1]
	v_pk_add_f32 v[60:61], v[10:11], v[14:15] neg_lo:[0,1] neg_hi:[0,1]
	;; [unrolled: 1-line block ×8, first 2 shown]
	v_pk_add_f32 v[2:3], v[58:59], v[60:61]
	v_pk_add_f32 v[6:7], v[22:23], v[26:27]
	;; [unrolled: 1-line block ×3, first 2 shown]
	s_delay_alu instid0(VALU_DEP_4)
	v_pk_add_f32 v[4:5], v[20:21], v[24:25]
	s_and_saveexec_b32 s1, s2
	s_cbranch_execz .LBB10_20
; %bb.19:
	v_mov_b64_e32 v[10:11], s[12:13]
	v_pk_add_f32 v[8:9], v[2:3], v[6:7]
	v_pk_add_f32 v[12:13], v[0:1], v[4:5]
	s_delay_alu instid0(VALU_DEP_2) | instskip(NEXT) | instid1(VALU_DEP_2)
	v_pk_mul_f32 v[8:9], v[10:11], v[8:9]
	v_pk_mul_f32 v[10:11], v[10:11], v[12:13]
	global_store_b128 v62, v[8:11], s[8:9] scale_offset
.LBB10_20:
	s_wait_xcnt 0x0
	s_or_b32 exec_lo, exec_lo, s1
	v_pk_add_f32 v[10:11], v[42:43], v[44:45] neg_lo:[0,1] neg_hi:[0,1]
	v_pk_add_f32 v[14:15], v[46:47], v[48:49] neg_lo:[0,1] neg_hi:[0,1]
	;; [unrolled: 1-line block ×4, first 2 shown]
	s_and_saveexec_b32 s1, s3
	s_cbranch_execz .LBB10_22
; %bb.21:
	v_mov_b64_e32 v[28:29], s[12:13]
	v_pk_add_f32 v[18:19], v[10:11], v[14:15]
	v_pk_add_f32 v[32:33], v[8:9], v[12:13]
	s_delay_alu instid0(VALU_DEP_2) | instskip(NEXT) | instid1(VALU_DEP_2)
	v_pk_mul_f32 v[42:43], v[28:29], v[18:19]
	v_pk_mul_f32 v[44:45], v[28:29], v[32:33]
	global_store_b128 v63, v[42:45], s[8:9] scale_offset
.LBB10_22:
	s_wait_xcnt 0x0
	s_or_b32 exec_lo, exec_lo, s1
	v_pk_add_f32 v[18:19], v[58:59], v[60:61] neg_lo:[0,1] neg_hi:[0,1]
	v_pk_add_f32 v[22:23], v[22:23], v[26:27] neg_lo:[0,1] neg_hi:[0,1]
	;; [unrolled: 1-line block ×4, first 2 shown]
	s_and_saveexec_b32 s1, s4
	s_cbranch_execnz .LBB10_28
; %bb.23:
	s_or_b32 exec_lo, exec_lo, s1
	s_and_saveexec_b32 s1, s5
	s_cbranch_execnz .LBB10_29
.LBB10_24:
	s_or_b32 exec_lo, exec_lo, s1
	s_and_saveexec_b32 s1, s6
	s_cbranch_execnz .LBB10_30
.LBB10_25:
	s_or_b32 exec_lo, exec_lo, s1
	s_and_saveexec_b32 s1, s7
	s_cbranch_execnz .LBB10_31
.LBB10_26:
	s_or_b32 exec_lo, exec_lo, s1
	s_and_saveexec_b32 s1, s0
	s_cbranch_execnz .LBB10_32
.LBB10_27:
	s_sendmsg sendmsg(MSG_DEALLOC_VGPRS)
	s_endpgm
.LBB10_28:
	v_mov_b64_e32 v[26:27], s[12:13]
	v_pk_add_f32 v[24:25], v[18:19], v[22:23]
	v_pk_add_f32 v[28:29], v[16:17], v[20:21]
	s_delay_alu instid0(VALU_DEP_2) | instskip(NEXT) | instid1(VALU_DEP_2)
	v_pk_mul_f32 v[24:25], v[26:27], v[24:25]
	v_pk_mul_f32 v[26:27], v[26:27], v[28:29]
	global_store_b128 v64, v[24:27], s[8:9] scale_offset
	s_wait_xcnt 0x0
	s_or_b32 exec_lo, exec_lo, s1
	s_and_saveexec_b32 s1, s5
	s_cbranch_execz .LBB10_24
.LBB10_29:
	v_mov_b64_e32 v[26:27], s[12:13]
	v_pk_add_f32 v[24:25], v[34:35], v[36:37] neg_lo:[0,1] neg_hi:[0,1]
	v_pk_add_f32 v[28:29], v[38:39], v[40:41] neg_lo:[0,1] neg_hi:[0,1]
	s_delay_alu instid0(VALU_DEP_2) | instskip(NEXT) | instid1(VALU_DEP_2)
	v_pk_mul_f32 v[24:25], v[26:27], v[24:25]
	v_pk_mul_f32 v[26:27], v[26:27], v[28:29]
	global_store_b128 v65, v[24:27], s[8:9] scale_offset
	s_wait_xcnt 0x0
	s_or_b32 exec_lo, exec_lo, s1
	s_and_saveexec_b32 s1, s6
	s_cbranch_execz .LBB10_25
.LBB10_30:
	v_pk_add_f32 v[2:3], v[2:3], v[6:7] neg_lo:[0,1] neg_hi:[0,1]
	v_mov_b64_e32 v[6:7], s[12:13]
	v_pk_add_f32 v[4:5], v[0:1], v[4:5] neg_lo:[0,1] neg_hi:[0,1]
	s_delay_alu instid0(VALU_DEP_2) | instskip(NEXT) | instid1(VALU_DEP_2)
	v_pk_mul_f32 v[0:1], v[6:7], v[2:3]
	v_pk_mul_f32 v[2:3], v[6:7], v[4:5]
	global_store_b128 v66, v[0:3], s[8:9] scale_offset
	s_wait_xcnt 0x0
	s_or_b32 exec_lo, exec_lo, s1
	s_and_saveexec_b32 s1, s7
	s_cbranch_execz .LBB10_26
.LBB10_31:
	v_mov_b64_e32 v[2:3], s[12:13]
	v_pk_add_f32 v[0:1], v[10:11], v[14:15] neg_lo:[0,1] neg_hi:[0,1]
	v_pk_add_f32 v[4:5], v[8:9], v[12:13] neg_lo:[0,1] neg_hi:[0,1]
	s_delay_alu instid0(VALU_DEP_2) | instskip(NEXT) | instid1(VALU_DEP_2)
	v_pk_mul_f32 v[0:1], v[2:3], v[0:1]
	v_pk_mul_f32 v[2:3], v[2:3], v[4:5]
	global_store_b128 v67, v[0:3], s[8:9] scale_offset
	s_wait_xcnt 0x0
	s_or_b32 exec_lo, exec_lo, s1
	s_and_saveexec_b32 s1, s0
	s_cbranch_execz .LBB10_27
.LBB10_32:
	v_mov_b64_e32 v[2:3], s[12:13]
	v_pk_add_f32 v[0:1], v[18:19], v[22:23] neg_lo:[0,1] neg_hi:[0,1]
	v_pk_add_f32 v[4:5], v[16:17], v[20:21] neg_lo:[0,1] neg_hi:[0,1]
	s_delay_alu instid0(VALU_DEP_2) | instskip(NEXT) | instid1(VALU_DEP_2)
	v_pk_mul_f32 v[0:1], v[2:3], v[0:1]
	v_pk_mul_f32 v[2:3], v[2:3], v[4:5]
	global_store_b128 v68, v[0:3], s[8:9] scale_offset
	s_sendmsg sendmsg(MSG_DEALLOC_VGPRS)
	s_endpgm
	.section	.rodata,"a",@progbits
	.p2align	6, 0x0
	.amdhsa_kernel _Z30fast_hadamard_transform_kernelI37fast_hadamard_transform_kernel_traitsILi256ELi13EfEEv18HadamardParamsBase
		.amdhsa_group_segment_fixed_size 0
		.amdhsa_private_segment_fixed_size 0
		.amdhsa_kernarg_size 312
		.amdhsa_user_sgpr_count 2
		.amdhsa_user_sgpr_dispatch_ptr 0
		.amdhsa_user_sgpr_queue_ptr 0
		.amdhsa_user_sgpr_kernarg_segment_ptr 1
		.amdhsa_user_sgpr_dispatch_id 0
		.amdhsa_user_sgpr_kernarg_preload_length 0
		.amdhsa_user_sgpr_kernarg_preload_offset 0
		.amdhsa_user_sgpr_private_segment_size 0
		.amdhsa_wavefront_size32 1
		.amdhsa_uses_dynamic_stack 0
		.amdhsa_enable_private_segment 0
		.amdhsa_system_sgpr_workgroup_id_x 1
		.amdhsa_system_sgpr_workgroup_id_y 0
		.amdhsa_system_sgpr_workgroup_id_z 0
		.amdhsa_system_sgpr_workgroup_info 0
		.amdhsa_system_vgpr_workitem_id 0
		.amdhsa_next_free_vgpr 72
		.amdhsa_next_free_sgpr 22
		.amdhsa_named_barrier_count 0
		.amdhsa_reserve_vcc 1
		.amdhsa_float_round_mode_32 0
		.amdhsa_float_round_mode_16_64 0
		.amdhsa_float_denorm_mode_32 3
		.amdhsa_float_denorm_mode_16_64 3
		.amdhsa_fp16_overflow 0
		.amdhsa_memory_ordered 1
		.amdhsa_forward_progress 1
		.amdhsa_inst_pref_size 61
		.amdhsa_round_robin_scheduling 0
		.amdhsa_exception_fp_ieee_invalid_op 0
		.amdhsa_exception_fp_denorm_src 0
		.amdhsa_exception_fp_ieee_div_zero 0
		.amdhsa_exception_fp_ieee_overflow 0
		.amdhsa_exception_fp_ieee_underflow 0
		.amdhsa_exception_fp_ieee_inexact 0
		.amdhsa_exception_int_div_zero 0
	.end_amdhsa_kernel
	.section	.text._Z30fast_hadamard_transform_kernelI37fast_hadamard_transform_kernel_traitsILi256ELi13EfEEv18HadamardParamsBase,"axG",@progbits,_Z30fast_hadamard_transform_kernelI37fast_hadamard_transform_kernel_traitsILi256ELi13EfEEv18HadamardParamsBase,comdat
.Lfunc_end10:
	.size	_Z30fast_hadamard_transform_kernelI37fast_hadamard_transform_kernel_traitsILi256ELi13EfEEv18HadamardParamsBase, .Lfunc_end10-_Z30fast_hadamard_transform_kernelI37fast_hadamard_transform_kernel_traitsILi256ELi13EfEEv18HadamardParamsBase
                                        ; -- End function
	.set _Z30fast_hadamard_transform_kernelI37fast_hadamard_transform_kernel_traitsILi256ELi13EfEEv18HadamardParamsBase.num_vgpr, 72
	.set _Z30fast_hadamard_transform_kernelI37fast_hadamard_transform_kernel_traitsILi256ELi13EfEEv18HadamardParamsBase.num_agpr, 0
	.set _Z30fast_hadamard_transform_kernelI37fast_hadamard_transform_kernel_traitsILi256ELi13EfEEv18HadamardParamsBase.numbered_sgpr, 22
	.set _Z30fast_hadamard_transform_kernelI37fast_hadamard_transform_kernel_traitsILi256ELi13EfEEv18HadamardParamsBase.num_named_barrier, 0
	.set _Z30fast_hadamard_transform_kernelI37fast_hadamard_transform_kernel_traitsILi256ELi13EfEEv18HadamardParamsBase.private_seg_size, 0
	.set _Z30fast_hadamard_transform_kernelI37fast_hadamard_transform_kernel_traitsILi256ELi13EfEEv18HadamardParamsBase.uses_vcc, 1
	.set _Z30fast_hadamard_transform_kernelI37fast_hadamard_transform_kernel_traitsILi256ELi13EfEEv18HadamardParamsBase.uses_flat_scratch, 0
	.set _Z30fast_hadamard_transform_kernelI37fast_hadamard_transform_kernel_traitsILi256ELi13EfEEv18HadamardParamsBase.has_dyn_sized_stack, 0
	.set _Z30fast_hadamard_transform_kernelI37fast_hadamard_transform_kernel_traitsILi256ELi13EfEEv18HadamardParamsBase.has_recursion, 0
	.set _Z30fast_hadamard_transform_kernelI37fast_hadamard_transform_kernel_traitsILi256ELi13EfEEv18HadamardParamsBase.has_indirect_call, 0
	.section	.AMDGPU.csdata,"",@progbits
; Kernel info:
; codeLenInByte = 7744
; TotalNumSgprs: 24
; NumVgprs: 72
; ScratchSize: 0
; MemoryBound: 0
; FloatMode: 240
; IeeeMode: 1
; LDSByteSize: 0 bytes/workgroup (compile time only)
; SGPRBlocks: 0
; VGPRBlocks: 4
; NumSGPRsForWavesPerEU: 24
; NumVGPRsForWavesPerEU: 72
; NamedBarCnt: 0
; Occupancy: 12
; WaveLimiterHint : 0
; COMPUTE_PGM_RSRC2:SCRATCH_EN: 0
; COMPUTE_PGM_RSRC2:USER_SGPR: 2
; COMPUTE_PGM_RSRC2:TRAP_HANDLER: 0
; COMPUTE_PGM_RSRC2:TGID_X_EN: 1
; COMPUTE_PGM_RSRC2:TGID_Y_EN: 0
; COMPUTE_PGM_RSRC2:TGID_Z_EN: 0
; COMPUTE_PGM_RSRC2:TIDIG_COMP_CNT: 0
	.section	.text._Z30fast_hadamard_transform_kernelI37fast_hadamard_transform_kernel_traitsILi256ELi14EfEEv18HadamardParamsBase,"axG",@progbits,_Z30fast_hadamard_transform_kernelI37fast_hadamard_transform_kernel_traitsILi256ELi14EfEEv18HadamardParamsBase,comdat
	.protected	_Z30fast_hadamard_transform_kernelI37fast_hadamard_transform_kernel_traitsILi256ELi14EfEEv18HadamardParamsBase ; -- Begin function _Z30fast_hadamard_transform_kernelI37fast_hadamard_transform_kernel_traitsILi256ELi14EfEEv18HadamardParamsBase
	.globl	_Z30fast_hadamard_transform_kernelI37fast_hadamard_transform_kernel_traitsILi256ELi14EfEEv18HadamardParamsBase
	.p2align	8
	.type	_Z30fast_hadamard_transform_kernelI37fast_hadamard_transform_kernel_traitsILi256ELi14EfEEv18HadamardParamsBase,@function
_Z30fast_hadamard_transform_kernelI37fast_hadamard_transform_kernel_traitsILi256ELi14EfEEv18HadamardParamsBase: ; @_Z30fast_hadamard_transform_kernelI37fast_hadamard_transform_kernel_traitsILi256ELi14EfEEv18HadamardParamsBase
; %bb.0:
	s_clause 0x3
	s_load_b128 s[24:27], s[0:1], 0x10
	s_load_b32 s18, s[0:1], 0x4
	s_load_b128 s[20:23], s[0:1], 0x28
	s_load_b32 s2, s[0:1], 0x44
	s_bfe_u32 s4, ttmp6, 0x4000c
	s_and_b32 s3, ttmp6, 15
	s_add_co_i32 s4, s4, 1
	s_getreg_b32 s5, hwreg(HW_REG_IB_STS2, 6, 4)
	s_mul_i32 s4, ttmp9, s4
	v_dual_mov_b32 v18, 0 :: v_dual_lshlrev_b32 v1, 2, v0
	s_add_co_i32 s3, s3, s4
	s_cmp_eq_u32 s5, 0
	v_dual_mov_b32 v22, 0 :: v_dual_mov_b32 v23, 0
	s_cselect_b32 s28, ttmp9, s3
	v_dual_mov_b32 v24, 0 :: v_dual_mov_b32 v25, 0
	s_ashr_i32 s29, s28, 31
	s_wait_kmcnt 0x0
	s_mul_u64 s[4:5], s[24:25], s[28:29]
	v_cmp_gt_u32_e64 s7, s18, v1
	s_lshl_b64 s[4:5], s[4:5], 2
	s_delay_alu instid0(SALU_CYCLE_1)
	s_add_nc_u64 s[16:17], s[20:21], s[4:5]
	s_and_saveexec_b32 s3, s7
	s_cbranch_execz .LBB11_2
; %bb.1:
	global_load_b128 v[22:25], v0, s[16:17] scale_offset
.LBB11_2:
	s_wait_xcnt 0x0
	s_or_b32 exec_lo, exec_lo, s3
	s_and_b32 s19, 0xffff, s2
	s_delay_alu instid0(SALU_CYCLE_1) | instskip(SKIP_1) | instid1(VALU_DEP_2)
	v_dual_mov_b32 v21, 0 :: v_dual_add_nc_u32 v140, s19, v0
	v_dual_mov_b32 v19, 0 :: v_dual_mov_b32 v20, 0
	v_lshlrev_b32_e32 v1, 2, v140
	s_delay_alu instid0(VALU_DEP_1)
	v_cmp_gt_u32_e64 s3, s18, v1
	s_and_saveexec_b32 s2, s3
	s_cbranch_execz .LBB11_4
; %bb.3:
	global_load_b128 v[18:21], v140, s[16:17] scale_offset
.LBB11_4:
	s_wait_xcnt 0x0
	s_or_b32 exec_lo, exec_lo, s2
	v_dual_mov_b32 v26, 0 :: v_dual_add_nc_u32 v139, s19, v140
	v_dual_mov_b32 v31, 0 :: v_dual_mov_b32 v32, 0
	s_delay_alu instid0(VALU_DEP_2) | instskip(SKIP_1) | instid1(VALU_DEP_2)
	v_dual_mov_b32 v33, 0 :: v_dual_lshlrev_b32 v1, 2, v139
	v_mov_b32_e32 v30, 0
	v_cmp_gt_u32_e64 s2, s18, v1
	s_and_saveexec_b32 s4, s2
	s_cbranch_execz .LBB11_6
; %bb.5:
	global_load_b128 v[30:33], v139, s[16:17] scale_offset
.LBB11_6:
	s_wait_xcnt 0x0
	s_or_b32 exec_lo, exec_lo, s4
	v_dual_mov_b32 v27, 0 :: v_dual_add_nc_u32 v138, s19, v139
	v_dual_mov_b32 v29, 0 :: v_dual_mov_b32 v28, 0
	s_delay_alu instid0(VALU_DEP_2) | instskip(NEXT) | instid1(VALU_DEP_1)
	v_lshlrev_b32_e32 v1, 2, v138
	v_cmp_gt_u32_e32 vcc_lo, s18, v1
	s_and_saveexec_b32 s4, vcc_lo
	s_cbranch_execz .LBB11_8
; %bb.7:
	global_load_b128 v[26:29], v138, s[16:17] scale_offset
.LBB11_8:
	s_wait_xcnt 0x0
	s_or_b32 exec_lo, exec_lo, s4
	v_dual_mov_b32 v2, 0 :: v_dual_add_nc_u32 v141, s19, v138
	v_dual_mov_b32 v7, 0 :: v_dual_mov_b32 v8, 0
	s_delay_alu instid0(VALU_DEP_2) | instskip(SKIP_1) | instid1(VALU_DEP_2)
	v_dual_mov_b32 v9, 0 :: v_dual_lshlrev_b32 v1, 2, v141
	v_mov_b32_e32 v6, 0
	v_cmp_gt_u32_e64 s4, s18, v1
	s_and_saveexec_b32 s5, s4
	s_cbranch_execz .LBB11_10
; %bb.9:
	global_load_b128 v[6:9], v141, s[16:17] scale_offset
.LBB11_10:
	s_wait_xcnt 0x0
	s_or_b32 exec_lo, exec_lo, s5
	v_dual_mov_b32 v3, 0 :: v_dual_add_nc_u32 v142, s19, v141
	v_dual_mov_b32 v5, 0 :: v_dual_mov_b32 v4, 0
	s_delay_alu instid0(VALU_DEP_2) | instskip(NEXT) | instid1(VALU_DEP_1)
	v_lshlrev_b32_e32 v1, 2, v142
	v_cmp_gt_u32_e64 s5, s18, v1
	s_and_saveexec_b32 s6, s5
	s_cbranch_execz .LBB11_12
; %bb.11:
	global_load_b128 v[2:5], v142, s[16:17] scale_offset
.LBB11_12:
	s_wait_xcnt 0x0
	s_or_b32 exec_lo, exec_lo, s6
	v_dual_mov_b32 v10, 0 :: v_dual_add_nc_u32 v143, s19, v142
	v_dual_mov_b32 v15, 0 :: v_dual_mov_b32 v16, 0
	s_delay_alu instid0(VALU_DEP_2) | instskip(SKIP_1) | instid1(VALU_DEP_2)
	v_dual_mov_b32 v17, 0 :: v_dual_lshlrev_b32 v1, 2, v143
	v_mov_b32_e32 v14, 0
	v_cmp_gt_u32_e64 s6, s18, v1
	s_and_saveexec_b32 s8, s6
	s_cbranch_execz .LBB11_14
; %bb.13:
	global_load_b128 v[14:17], v143, s[16:17] scale_offset
.LBB11_14:
	s_wait_xcnt 0x0
	s_or_b32 exec_lo, exec_lo, s8
	v_dual_mov_b32 v11, 0 :: v_dual_add_nc_u32 v144, s19, v143
	v_dual_mov_b32 v13, 0 :: v_dual_mov_b32 v12, 0
	s_delay_alu instid0(VALU_DEP_2) | instskip(NEXT) | instid1(VALU_DEP_1)
	v_lshlrev_b32_e32 v1, 2, v144
	v_cmp_gt_u32_e64 s8, s18, v1
	s_and_saveexec_b32 s9, s8
	s_cbranch_execz .LBB11_16
; %bb.15:
	global_load_b128 v[10:13], v144, s[16:17] scale_offset
.LBB11_16:
	s_wait_xcnt 0x0
	s_or_b32 exec_lo, exec_lo, s9
	v_dual_mov_b32 v56, 0 :: v_dual_add_nc_u32 v145, s19, v144
	v_dual_mov_b32 v63, 0 :: v_dual_mov_b32 v42, 0
	s_delay_alu instid0(VALU_DEP_2) | instskip(SKIP_1) | instid1(VALU_DEP_2)
	v_dual_mov_b32 v43, 0 :: v_dual_lshlrev_b32 v1, 2, v145
	v_mov_b32_e32 v62, 0
	v_cmp_gt_u32_e64 s9, s18, v1
	s_and_saveexec_b32 s10, s9
	s_cbranch_execz .LBB11_18
; %bb.17:
	global_load_b128 v[42:45], v145, s[16:17] scale_offset
	s_wait_loadcnt 0x0
	v_dual_mov_b32 v62, v44 :: v_dual_mov_b32 v63, v42
	v_mov_b32_e32 v42, v45
.LBB11_18:
	s_or_b32 exec_lo, exec_lo, s10
	v_dual_mov_b32 v57, 0 :: v_dual_add_nc_u32 v146, s19, v145
	v_dual_mov_b32 v35, 0 :: v_dual_mov_b32 v34, 0
	s_delay_alu instid0(VALU_DEP_2) | instskip(NEXT) | instid1(VALU_DEP_1)
	v_lshlrev_b32_e32 v1, 2, v146
	v_cmp_gt_u32_e64 s10, s18, v1
	s_and_saveexec_b32 s11, s10
	s_cbranch_execz .LBB11_20
; %bb.19:
	global_load_b128 v[34:37], v146, s[16:17] scale_offset
	s_wait_loadcnt 0x0
	v_dual_mov_b32 v56, v36 :: v_dual_mov_b32 v57, v34
	v_mov_b32_e32 v34, v37
.LBB11_20:
	s_or_b32 exec_lo, exec_lo, s11
	v_dual_mov_b32 v60, 0 :: v_dual_add_nc_u32 v147, s19, v146
	v_dual_mov_b32 v59, 0 :: v_dual_mov_b32 v36, 0
	s_delay_alu instid0(VALU_DEP_2) | instskip(SKIP_1) | instid1(VALU_DEP_2)
	v_dual_mov_b32 v37, 0 :: v_dual_lshlrev_b32 v1, 2, v147
	v_mov_b32_e32 v58, 0
	v_cmp_gt_u32_e64 s11, s18, v1
	s_and_saveexec_b32 s12, s11
	s_cbranch_execz .LBB11_22
; %bb.21:
	global_load_b128 v[36:39], v147, s[16:17] scale_offset
	s_wait_loadcnt 0x0
	v_dual_mov_b32 v58, v38 :: v_dual_mov_b32 v59, v36
	v_mov_b32_e32 v36, v39
.LBB11_22:
	s_or_b32 exec_lo, exec_lo, s12
	v_dual_mov_b32 v61, 0 :: v_dual_add_nc_u32 v148, s19, v147
	v_dual_mov_b32 v39, 0 :: v_dual_mov_b32 v38, 0
	s_delay_alu instid0(VALU_DEP_2) | instskip(NEXT) | instid1(VALU_DEP_1)
	v_lshlrev_b32_e32 v1, 2, v148
	v_cmp_gt_u32_e64 s12, s18, v1
	s_and_saveexec_b32 s13, s12
	s_cbranch_execz .LBB11_24
; %bb.23:
	global_load_b128 v[38:41], v148, s[16:17] scale_offset
	s_wait_loadcnt 0x0
	v_dual_mov_b32 v60, v40 :: v_dual_mov_b32 v61, v38
	v_mov_b32_e32 v38, v41
.LBB11_24:
	;; [unrolled: 29-line block ×3, first 2 shown]
	s_or_b32 exec_lo, exec_lo, s15
	v_dual_mov_b32 v48, 0 :: v_dual_add_nc_u32 v151, s19, v150
	v_dual_mov_b32 v77, 0 :: v_dual_mov_b32 v52, 0
	s_delay_alu instid0(VALU_DEP_2) | instskip(SKIP_1) | instid1(VALU_DEP_2)
	v_dual_mov_b32 v53, 0 :: v_dual_lshlrev_b32 v1, 2, v151
	v_mov_b32_e32 v76, 0
	v_cmp_gt_u32_e64 s15, s18, v1
	s_and_saveexec_b32 s20, s15
	s_cbranch_execz .LBB11_30
; %bb.29:
	global_load_b128 v[52:55], v151, s[16:17] scale_offset
	s_wait_loadcnt 0x0
	v_dual_mov_b32 v76, v54 :: v_dual_mov_b32 v77, v52
	v_mov_b32_e32 v52, v55
.LBB11_30:
	s_or_b32 exec_lo, exec_lo, s20
	s_load_b32 s20, s[0:1], 0x20
	v_dual_mov_b32 v49, 0 :: v_dual_add_nc_u32 v152, s19, v151
	v_dual_mov_b32 v51, 0 :: v_dual_mov_b32 v50, 0
	s_delay_alu instid0(VALU_DEP_2) | instskip(SKIP_1) | instid1(VALU_DEP_1)
	v_lshlrev_b32_e32 v1, 2, v152
	s_wait_xcnt 0x0
	v_cmp_gt_u32_e64 s0, s18, v1
	s_and_saveexec_b32 s1, s0
	s_cbranch_execz .LBB11_32
; %bb.31:
	global_load_b128 v[48:51], v152, s[16:17] scale_offset
.LBB11_32:
	s_wait_xcnt 0x0
	s_or_b32 exec_lo, exec_lo, s1
	v_mbcnt_lo_u32_b32 v78, -1, 0
	v_pk_add_f32 v[72:73], v[62:63], v[42:43]
	v_pk_add_f32 v[70:71], v[62:63], v[42:43] neg_lo:[0,1] neg_hi:[0,1]
	v_pk_add_f32 v[66:67], v[56:57], v[34:35]
	v_pk_add_f32 v[68:69], v[56:57], v[34:35] neg_lo:[0,1] neg_hi:[0,1]
	v_xor_b32_e32 v1, 1, v78
	v_pk_add_f32 v[62:63], v[58:59], v[36:37]
	v_pk_add_f32 v[64:65], v[58:59], v[36:37] neg_lo:[0,1] neg_hi:[0,1]
	v_pk_add_f32 v[34:35], v[74:75], v[44:45]
	v_pk_add_f32 v[36:37], v[74:75], v[44:45] neg_lo:[0,1] neg_hi:[0,1]
	s_wait_loadcnt 0x0
	v_add_f32_e32 v75, v24, v25
	v_cmp_gt_i32_e64 s1, 32, v1
	v_pk_add_f32 v[58:59], v[60:61], v[38:39]
	v_pk_add_f32 v[60:61], v[60:61], v[38:39] neg_lo:[0,1] neg_hi:[0,1]
	v_dual_add_f32 v79, v22, v23 :: v_dual_mov_b32 v38, v49
	s_delay_alu instid0(VALU_DEP_4) | instskip(SKIP_1) | instid1(VALU_DEP_3)
	v_dual_cndmask_b32 v39, v78, v1, s1 :: v_dual_mov_b32 v1, v48
	v_mov_b32_e32 v44, v51
	v_add_f32_e32 v80, v79, v75
	v_dual_sub_f32 v22, v22, v23 :: v_dual_bitop2_b32 v23, 2, v78 bitop3:0x14
	s_delay_alu instid0(VALU_DEP_4)
	v_lshlrev_b32_e32 v74, 2, v39
	v_pk_add_f32 v[38:39], v[48:49], v[38:39]
	v_pk_add_f32 v[42:43], v[0:1], v[48:49] neg_lo:[0,1] neg_hi:[0,1]
	v_dual_add_f32 v39, v20, v21 :: v_dual_bitop2_b32 v42, 1, v0 bitop3:0x40
	v_sub_f32_e32 v24, v24, v25
	ds_bpermute_b32 v1, v74, v80
	v_sub_f32_e32 v20, v20, v21
	v_cmp_gt_i32_e64 s1, 32, v23
	v_cmp_eq_u32_e64 s17, 0, v42
	v_add_f32_e32 v21, v22, v24
	v_pk_add_f32 v[54:55], v[40:41], v[46:47]
	v_pk_add_f32 v[56:57], v[40:41], v[46:47] neg_lo:[0,1] neg_hi:[0,1]
	v_pk_add_f32 v[40:41], v[50:51], v[44:45]
	v_dual_add_f32 v41, v18, v19 :: v_dual_add_f32 v48, v32, v33
	v_dual_cndmask_b32 v42, -v80, v80, s17 :: v_dual_cndmask_b32 v23, v78, v23, s1
	v_sub_f32_e32 v18, v18, v19
	ds_bpermute_b32 v19, v74, v21
	v_pk_add_f32 v[44:45], v[50:51], v[44:45] neg_lo:[0,1] neg_hi:[0,1]
	v_dual_add_f32 v25, v30, v31 :: v_dual_add_f32 v49, v28, v29
	v_add_f32_e32 v50, v26, v27
	v_dual_sub_f32 v30, v30, v31 :: v_dual_sub_f32 v28, v28, v29
	s_wait_dscnt 0x1
	v_dual_add_f32 v42, v42, v1 :: v_dual_lshlrev_b32 v1, 2, v23
	v_sub_f32_e32 v23, v32, v33
	v_dual_add_f32 v31, v8, v9 :: v_dual_sub_f32 v26, v26, v27
	v_sub_f32_e32 v29, v8, v9
	ds_bpermute_b32 v33, v1, v42
	v_dual_sub_f32 v8, v79, v75 :: v_dual_sub_f32 v9, v22, v24
	v_dual_cndmask_b32 v21, -v21, v21, s17 :: v_dual_bitop2_b32 v22, 2, v0 bitop3:0x40
	v_xor_b32_e32 v24, 4, v78
	ds_bpermute_b32 v45, v74, v8
	ds_bpermute_b32 v51, v74, v9
	s_wait_dscnt 0x3
	v_add_f32_e32 v19, v21, v19
	v_cmp_eq_u32_e64 s1, 0, v22
	v_cmp_gt_i32_e64 s16, 32, v24
	v_dual_add_f32 v32, v6, v7 :: v_dual_add_f32 v27, v4, v5
	v_pk_add_f32 v[46:47], v[76:77], v[52:53]
	s_delay_alu instid0(VALU_DEP_4) | instskip(NEXT) | instid1(VALU_DEP_4)
	v_cndmask_b32_e64 v21, -v42, v42, s1
	v_cndmask_b32_e64 v22, v78, v24, s16
	v_sub_f32_e32 v24, v6, v7
	ds_bpermute_b32 v6, v1, v19
	v_pk_add_f32 v[52:53], v[76:77], v[52:53] neg_lo:[0,1] neg_hi:[0,1]
	v_dual_add_f32 v76, v2, v3 :: v_dual_lshlrev_b32 v75, 2, v22
	v_add_f32_e32 v22, v16, v17
	s_wait_dscnt 0x3
	v_add_f32_e32 v7, v21, v33
	v_dual_sub_f32 v21, v4, v5 :: v_dual_sub_f32 v33, v2, v3
	v_dual_cndmask_b32 v2, -v8, v8, s17 :: v_dual_add_f32 v5, v41, v39
	v_dual_cndmask_b32 v3, -v9, v9, s17 :: v_dual_add_f32 v77, v14, v15
	s_wait_dscnt 0x2
	s_delay_alu instid0(VALU_DEP_2)
	v_dual_cndmask_b32 v8, -v19, v19, s1 :: v_dual_add_f32 v2, v2, v45
	ds_bpermute_b32 v9, v74, v5
	s_wait_dscnt 0x2
	v_dual_add_f32 v3, v3, v51 :: v_dual_add_f32 v51, v12, v13
	v_and_b32_e32 v45, 4, v0
	ds_bpermute_b32 v19, v1, v2
	ds_bpermute_b32 v4, v75, v7
	;; [unrolled: 1-line block ×3, first 2 shown]
	s_wait_dscnt 0x4
	v_dual_add_f32 v6, v8, v6 :: v_dual_add_f32 v81, v10, v11
	v_cmp_eq_u32_e64 s16, 0, v45
	v_dual_add_f32 v8, v18, v20 :: v_dual_sub_f32 v82, v12, v13
	v_sub_f32_e32 v83, v10, v11
	ds_bpermute_b32 v12, v75, v6
	v_cndmask_b32_e64 v7, -v7, v7, s16
	ds_bpermute_b32 v10, v74, v8
	v_dual_cndmask_b32 v5, -v5, v5, s17 :: v_dual_cndmask_b32 v2, -v2, v2, s1
	v_dual_cndmask_b32 v3, -v3, v3, s1 :: v_dual_bitop2_b32 v11, 8, v78 bitop3:0x14
	s_wait_dscnt 0x5
	s_delay_alu instid0(VALU_DEP_2)
	v_dual_cndmask_b32 v6, -v6, v6, s16 :: v_dual_add_f32 v5, v5, v9
	v_dual_sub_f32 v79, v16, v17 :: v_dual_sub_f32 v80, v14, v15
	s_wait_dscnt 0x4
	v_add_f32_e32 v2, v2, v19
	v_cmp_gt_i32_e64 s18, 32, v11
	ds_bpermute_b32 v13, v1, v5
	s_wait_dscnt 0x3
	v_dual_add_f32 v3, v3, v42 :: v_dual_bitop2_b32 v9, 8, v0 bitop3:0x40
	ds_bpermute_b32 v14, v75, v2
	v_dual_cndmask_b32 v11, v78, v11, s18 :: v_dual_cndmask_b32 v8, -v8, v8, s17
	ds_bpermute_b32 v15, v75, v3
	s_wait_dscnt 0x4
	v_add_f32_e32 v6, v6, v12
	v_cmp_eq_u32_e64 s18, 0, v9
	v_dual_lshlrev_b32 v42, 2, v11 :: v_dual_add_f32 v4, v7, v4
	s_wait_dscnt 0x3
	v_add_f32_e32 v7, v8, v10
	v_dual_sub_f32 v9, v41, v39 :: v_dual_bitop2_b32 v8, 16, v78 bitop3:0x14
	v_dual_cndmask_b32 v2, -v2, v2, s16 :: v_dual_cndmask_b32 v5, -v5, v5, s1
	v_cndmask_b32_e64 v3, -v3, v3, s16
	s_delay_alu instid0(VALU_DEP_3)
	v_cmp_gt_i32_e64 s19, 32, v8
	ds_bpermute_b32 v10, v42, v4
	ds_bpermute_b32 v11, v42, v6
	;; [unrolled: 1-line block ×4, first 2 shown]
	s_wait_dscnt 0x6
	v_dual_cndmask_b32 v8, v78, v8, s19 :: v_dual_add_f32 v5, v5, v13
	s_wait_dscnt 0x5
	v_dual_add_f32 v2, v2, v14 :: v_dual_cndmask_b32 v4, -v4, v4, s18
	s_wait_dscnt 0x4
	v_dual_cndmask_b32 v6, -v6, v6, s18 :: v_dual_add_f32 v3, v3, v15
	ds_bpermute_b32 v13, v75, v5
	ds_bpermute_b32 v14, v42, v2
	v_dual_cndmask_b32 v7, -v7, v7, s1 :: v_dual_bitop2_b32 v17, 16, v0 bitop3:0x40
	ds_bpermute_b32 v15, v42, v3
	v_dual_cndmask_b32 v9, -v9, v9, s17 :: v_dual_lshlrev_b32 v45, 2, v8
	v_dual_cndmask_b32 v2, -v2, v2, s18 :: v_dual_cndmask_b32 v5, -v5, v5, s16
	v_cmp_eq_u32_e64 s19, 0, v17
	s_wait_dscnt 0x5
	v_dual_add_f32 v4, v4, v10 :: v_dual_add_f32 v6, v6, v11
	s_wait_dscnt 0x4
	v_add_f32_e32 v7, v7, v12
	s_wait_dscnt 0x3
	v_dual_add_f32 v8, v9, v16 :: v_dual_cndmask_b32 v3, -v3, v3, s18
	v_sub_f32_e32 v9, v18, v20
	ds_bpermute_b32 v16, v45, v4
	ds_bpermute_b32 v10, v75, v7
	;; [unrolled: 1-line block ×3, first 2 shown]
	s_wait_dscnt 0x5
	v_dual_cndmask_b32 v4, -v4, v4, s19 :: v_dual_add_f32 v5, v5, v13
	ds_bpermute_b32 v12, v74, v9
	s_wait_dscnt 0x5
	v_add_f32_e32 v2, v2, v14
	ds_bpermute_b32 v13, v45, v6
	s_wait_dscnt 0x5
	v_add_f32_e32 v3, v3, v15
	ds_bpermute_b32 v14, v42, v5
	v_dual_cndmask_b32 v6, -v6, v6, s19 :: v_dual_cndmask_b32 v7, -v7, v7, s16
	ds_bpermute_b32 v15, v45, v2
	ds_bpermute_b32 v17, v45, v3
	v_dual_cndmask_b32 v18, -v2, v2, s19 :: v_dual_cndmask_b32 v2, -v8, v8, s1
	v_dual_cndmask_b32 v8, -v3, v3, s19 :: v_dual_cndmask_b32 v3, -v9, v9, s17
	v_cndmask_b32_e64 v5, -v5, v5, s18
	s_wait_dscnt 0x0
	s_barrier_signal -1
	v_dual_add_f32 v7, v7, v10 :: v_dual_add_f32 v9, v2, v11
	v_add_f32_e32 v10, v25, v48
	v_add_f32_e32 v2, v4, v16
	v_dual_add_f32 v11, v3, v12 :: v_dual_add_f32 v12, v30, v23
	ds_bpermute_b32 v19, v42, v7
	ds_bpermute_b32 v20, v75, v9
	;; [unrolled: 1-line block ×5, first 2 shown]
	v_dual_add_f32 v14, v5, v14 :: v_dual_add_f32 v3, v6, v13
	v_cndmask_b32_e64 v6, -v7, v7, s18
	v_dual_add_f32 v4, v18, v15 :: v_dual_add_f32 v5, v8, v17
	ds_bpermute_b32 v7, v45, v14
	v_dual_cndmask_b32 v8, -v9, v9, s16 :: v_dual_sub_f32 v13, v30, v23
	v_dual_sub_f32 v9, v25, v48 :: v_dual_cndmask_b32 v11, -v11, v11, s1
	v_dual_cndmask_b32 v10, -v10, v10, s17 :: v_dual_cndmask_b32 v12, -v12, v12, s17
	ds_bpermute_b32 v16, v74, v13
	ds_bpermute_b32 v15, v74, v9
	v_cndmask_b32_e64 v14, -v14, v14, s19
	s_wait_dscnt 0x6
	v_dual_add_f32 v6, v6, v19 :: v_dual_add_f32 v8, v8, v20
	s_wait_dscnt 0x4
	v_dual_add_f32 v10, v10, v39 :: v_dual_add_f32 v11, v11, v41
	s_wait_dscnt 0x3
	v_add_f32_e32 v12, v12, v78
	ds_bpermute_b32 v23, v45, v6
	ds_bpermute_b32 v17, v42, v8
	;; [unrolled: 1-line block ×4, first 2 shown]
	v_cndmask_b32_e64 v25, -v6, v6, s19
	s_wait_dscnt 0x6
	v_add_f32_e32 v6, v14, v7
	ds_bpermute_b32 v20, v1, v12
	v_cndmask_b32_e64 v7, -v9, v9, s17
	v_dual_cndmask_b32 v9, -v13, v13, s17 :: v_dual_cndmask_b32 v8, -v8, v8, s18
	v_dual_add_f32 v13, v50, v49 :: v_dual_cndmask_b32 v11, -v11, v11, s16
	s_wait_dscnt 0x5
	s_delay_alu instid0(VALU_DEP_3) | instskip(NEXT) | instid1(VALU_DEP_3)
	v_dual_add_f32 v30, v26, v28 :: v_dual_add_f32 v14, v7, v15
	v_dual_cndmask_b32 v7, -v10, v10, s1 :: v_dual_add_f32 v9, v9, v16
	ds_bpermute_b32 v10, v74, v13
	v_cndmask_b32_e64 v12, -v12, v12, s1
	ds_bpermute_b32 v15, v1, v14
	v_cndmask_b32_e64 v14, -v14, v14, s1
	ds_bpermute_b32 v16, v1, v9
	s_wait_dscnt 0x5
	v_dual_add_f32 v8, v8, v17 :: v_dual_add_f32 v17, v7, v18
	s_wait_dscnt 0x4
	v_add_f32_e32 v11, v11, v19
	ds_bpermute_b32 v18, v74, v30
	s_wait_dscnt 0x4
	v_dual_add_f32 v7, v25, v23 :: v_dual_add_f32 v12, v12, v20
	ds_bpermute_b32 v19, v75, v17
	ds_bpermute_b32 v20, v45, v8
	;; [unrolled: 1-line block ×3, first 2 shown]
	v_cndmask_b32_e64 v13, -v13, v13, s17
	ds_bpermute_b32 v23, v75, v12
	v_cndmask_b32_e64 v17, -v17, v17, s16
	v_dual_cndmask_b32 v9, -v9, v9, s1 :: v_dual_cndmask_b32 v12, -v12, v12, s16
	s_barrier_wait -1
	s_wait_dscnt 0x7
	v_dual_add_f32 v10, v13, v10 :: v_dual_sub_f32 v13, v50, v49
	s_wait_dscnt 0x6
	v_add_f32_e32 v14, v14, v15
	s_wait_dscnt 0x5
	v_dual_cndmask_b32 v15, -v30, v30, s17 :: v_dual_add_f32 v9, v9, v16
	ds_bpermute_b32 v16, v1, v10
	v_cndmask_b32_e64 v8, -v8, v8, s19
	ds_bpermute_b32 v39, v75, v14
	ds_bpermute_b32 v30, v74, v13
	s_wait_dscnt 0x7
	v_add_f32_e32 v15, v15, v18
	ds_bpermute_b32 v41, v75, v9
	s_wait_dscnt 0x7
	v_add_f32_e32 v17, v17, v19
	s_wait_dscnt 0x6
	v_dual_cndmask_b32 v11, -v11, v11, s18 :: v_dual_add_f32 v8, v8, v20
	ds_bpermute_b32 v18, v1, v15
	s_wait_dscnt 0x5
	v_add_f32_e32 v12, v12, v23
	ds_bpermute_b32 v19, v42, v17
	v_add_f32_e32 v11, v11, v25
	v_dual_cndmask_b32 v17, -v17, v17, s18 :: v_dual_cndmask_b32 v10, -v10, v10, s1
	ds_bpermute_b32 v20, v42, v12
	v_dual_cndmask_b32 v13, -v13, v13, s17 :: v_dual_cndmask_b32 v14, -v14, v14, s16
	v_dual_cndmask_b32 v9, -v9, v9, s16 :: v_dual_cndmask_b32 v12, -v12, v12, s18
	s_wait_dscnt 0x6
	v_dual_add_f32 v10, v10, v16 :: v_dual_cndmask_b32 v15, -v15, v15, s1
	s_wait_dscnt 0x4
	v_dual_add_f32 v14, v14, v39 :: v_dual_add_f32 v13, v13, v30
	s_wait_dscnt 0x0
	v_add_f32_e32 v9, v9, v41
	ds_bpermute_b32 v16, v75, v10
	ds_bpermute_b32 v25, v42, v14
	;; [unrolled: 1-line block ×3, first 2 shown]
	v_cndmask_b32_e64 v10, -v10, v10, s16
	ds_bpermute_b32 v30, v42, v9
	v_add_f32_e32 v17, v17, v19
	v_dual_cndmask_b32 v13, -v13, v13, s1 :: v_dual_cndmask_b32 v14, -v14, v14, s18
	s_wait_kmcnt 0x0
	s_mov_b32 s21, s20
	v_dual_add_f32 v12, v12, v20 :: v_dual_add_f32 v15, v15, v18
	ds_bpermute_b32 v18, v45, v11
	v_dual_cndmask_b32 v11, -v11, v11, s19 :: v_dual_sub_f32 v20, v26, v28
	ds_bpermute_b32 v26, v45, v17
	ds_bpermute_b32 v19, v75, v15
	v_cndmask_b32_e64 v17, -v17, v17, s19
	ds_bpermute_b32 v28, v45, v12
	ds_bpermute_b32 v39, v74, v20
	v_dual_cndmask_b32 v9, -v9, v9, s18 :: v_dual_cndmask_b32 v12, -v12, v12, s19
	s_wait_dscnt 0x6
	v_dual_add_f32 v16, v10, v16 :: v_dual_add_f32 v13, v13, v23
	s_wait_dscnt 0x5
	s_delay_alu instid0(VALU_DEP_2)
	v_dual_add_f32 v14, v14, v25 :: v_dual_add_f32 v23, v9, v30
	v_dual_cndmask_b32 v9, -v15, v15, s16 :: v_dual_cndmask_b32 v20, -v20, v20, s17
	ds_bpermute_b32 v15, v42, v16
	ds_bpermute_b32 v30, v45, v14
	;; [unrolled: 1-line block ×4, first 2 shown]
	v_dual_cndmask_b32 v13, -v13, v13, s16 :: v_dual_cndmask_b32 v14, -v14, v14, s19
	s_wait_dscnt 0x7
	v_dual_cndmask_b32 v23, -v23, v23, s19 :: v_dual_add_f32 v10, v17, v26
	s_wait_dscnt 0x6
	v_dual_add_f32 v19, v9, v19 :: v_dual_add_f32 v9, v11, v18
	s_wait_dscnt 0x5
	v_add_f32_e32 v11, v12, v28
	s_wait_dscnt 0x4
	v_add_f32_e32 v18, v20, v39
	v_add_f32_e32 v20, v32, v31
	ds_bpermute_b32 v17, v42, v19
	v_cndmask_b32_e64 v12, -v16, v16, s18
	v_add_f32_e32 v16, v24, v29
	ds_bpermute_b32 v26, v1, v18
	ds_bpermute_b32 v28, v74, v20
	v_sub_f32_e32 v24, v24, v29
	s_wait_dscnt 0x5
	v_dual_add_f32 v15, v12, v15 :: v_dual_add_f32 v12, v14, v30
	ds_bpermute_b32 v39, v74, v16
	s_wait_dscnt 0x5
	v_dual_cndmask_b32 v14, -v19, v19, s18 :: v_dual_add_f32 v25, v13, v25
	s_wait_dscnt 0x4
	v_dual_add_f32 v13, v23, v41 :: v_dual_sub_f32 v30, v32, v31
	ds_bpermute_b32 v19, v45, v15
	v_cndmask_b32_e64 v16, -v16, v16, s17
	ds_bpermute_b32 v23, v42, v25
	ds_bpermute_b32 v29, v74, v24
	v_dual_cndmask_b32 v15, -v15, v15, s19 :: v_dual_cndmask_b32 v25, -v25, v25, s18
	s_wait_dscnt 0x6
	v_add_f32_e32 v14, v14, v17
	v_dual_cndmask_b32 v17, -v18, v18, s1 :: v_dual_cndmask_b32 v18, -v20, v20, s17
	ds_bpermute_b32 v20, v74, v30
	ds_bpermute_b32 v31, v45, v14
	s_wait_dscnt 0x6
	v_dual_add_f32 v17, v17, v26 :: v_dual_add_f32 v18, v18, v28
	s_wait_dscnt 0x5
	v_dual_cndmask_b32 v32, -v14, v14, s19 :: v_dual_add_f32 v16, v16, v39
	ds_bpermute_b32 v26, v75, v17
	ds_bpermute_b32 v28, v1, v18
	v_cndmask_b32_e64 v17, -v17, v17, s16
	ds_bpermute_b32 v39, v1, v16
	s_wait_dscnt 0x7
	v_dual_add_f32 v14, v15, v19 :: v_dual_cndmask_b32 v15, -v30, v30, s17
	s_wait_dscnt 0x6
	v_dual_add_f32 v19, v25, v23 :: v_dual_cndmask_b32 v23, -v24, v24, s17
	v_dual_add_f32 v24, v76, v27 :: v_dual_cndmask_b32 v18, -v18, v18, s1
	s_wait_dscnt 0x5
	s_delay_alu instid0(VALU_DEP_2)
	v_dual_cndmask_b32 v16, -v16, v16, s1 :: v_dual_add_f32 v23, v23, v29
	s_wait_dscnt 0x4
	v_dual_add_f32 v20, v15, v20 :: v_dual_add_f32 v25, v33, v21
	ds_bpermute_b32 v29, v74, v24
	s_wait_dscnt 0x4
	v_add_f32_e32 v15, v32, v31
	ds_bpermute_b32 v41, v1, v23
	ds_bpermute_b32 v30, v1, v20
	v_dual_cndmask_b32 v24, -v24, v24, s17 :: v_dual_cndmask_b32 v23, -v23, v23, s1
	s_wait_dscnt 0x4
	v_dual_add_f32 v17, v17, v26 :: v_dual_add_f32 v18, v18, v28
	ds_bpermute_b32 v48, v74, v25
	s_wait_dscnt 0x4
	v_add_f32_e32 v16, v16, v39
	v_dual_sub_f32 v27, v76, v27 :: v_dual_cndmask_b32 v25, -v25, v25, s17
	ds_bpermute_b32 v28, v42, v17
	ds_bpermute_b32 v31, v75, v18
	v_cndmask_b32_e64 v17, -v17, v17, s18
	ds_bpermute_b32 v32, v75, v16
	ds_bpermute_b32 v39, v74, v27
	v_dual_cndmask_b32 v20, -v20, v20, s1 :: v_dual_cndmask_b32 v18, -v18, v18, s16
	v_cndmask_b32_e64 v16, -v16, v16, s16
	s_wait_dscnt 0x7
	v_dual_add_f32 v24, v24, v29 :: v_dual_cndmask_b32 v27, -v27, v27, s17
	s_wait_dscnt 0x5
	v_dual_add_f32 v23, v23, v41 :: v_dual_add_f32 v20, v20, v30
	ds_bpermute_b32 v26, v45, v19
	v_sub_f32_e32 v21, v33, v21
	ds_bpermute_b32 v41, v75, v23
	s_wait_dscnt 0x6
	v_add_f32_e32 v25, v25, v48
	ds_bpermute_b32 v29, v1, v24
	ds_bpermute_b32 v30, v75, v20
	v_dual_cndmask_b32 v24, -v24, v24, s1 :: v_dual_cndmask_b32 v23, -v23, v23, s16
	s_wait_dscnt 0x7
	v_add_f32_e32 v17, v17, v28
	ds_bpermute_b32 v48, v1, v25
	s_wait_dscnt 0x7
	v_add_f32_e32 v18, v18, v31
	s_wait_dscnt 0x6
	v_dual_cndmask_b32 v19, -v19, v19, s19 :: v_dual_add_f32 v16, v16, v32
	s_wait_dscnt 0x5
	v_add_f32_e32 v27, v27, v39
	ds_bpermute_b32 v28, v45, v17
	ds_bpermute_b32 v31, v42, v18
	v_cndmask_b32_e64 v17, -v17, v17, s19
	ds_bpermute_b32 v32, v42, v16
	ds_bpermute_b32 v39, v1, v27
	v_dual_cndmask_b32 v20, -v20, v20, s16 :: v_dual_cndmask_b32 v25, -v25, v25, s1
	s_wait_dscnt 0x7
	v_dual_cndmask_b32 v18, -v18, v18, s18 :: v_dual_add_f32 v23, v23, v41
	s_wait_dscnt 0x6
	v_add_f32_e32 v24, v24, v29
	s_wait_dscnt 0x5
	v_add_f32_e32 v20, v20, v30
	v_dual_cndmask_b32 v30, -v16, v16, s18 :: v_dual_add_f32 v16, v19, v26
	s_wait_dscnt 0x4
	v_dual_cndmask_b32 v19, -v27, v27, s1 :: v_dual_add_f32 v25, v25, v48
	ds_bpermute_b32 v29, v75, v24
	ds_bpermute_b32 v41, v42, v20
	;; [unrolled: 1-line block ×3, first 2 shown]
	v_dual_cndmask_b32 v24, -v24, v24, s16 :: v_dual_cndmask_b32 v23, -v23, v23, s18
	ds_bpermute_b32 v49, v75, v25
	s_wait_dscnt 0x6
	v_dual_add_f32 v18, v18, v31 :: v_dual_add_f32 v17, v17, v28
	s_wait_dscnt 0x4
	v_dual_add_f32 v26, v30, v32 :: v_dual_add_f32 v19, v19, v39
	ds_bpermute_b32 v28, v74, v21
	ds_bpermute_b32 v27, v45, v18
	v_dual_cndmask_b32 v18, -v18, v18, s19 :: v_dual_cndmask_b32 v20, -v20, v20, s18
	v_cndmask_b32_e64 v25, -v25, v25, s16
	ds_bpermute_b32 v30, v75, v19
	v_dual_cndmask_b32 v21, -v21, v21, s17 :: v_dual_cndmask_b32 v19, -v19, v19, s16
	s_wait_dscnt 0x6
	v_add_f32_e32 v24, v24, v29
	s_wait_dscnt 0x4
	v_dual_add_f32 v20, v20, v41 :: v_dual_add_f32 v23, v23, v48
	ds_bpermute_b32 v29, v45, v26
	s_wait_dscnt 0x4
	v_dual_cndmask_b32 v26, -v26, v26, s19 :: v_dual_add_f32 v25, v25, v49
	ds_bpermute_b32 v31, v42, v24
	ds_bpermute_b32 v32, v45, v20
	;; [unrolled: 1-line block ×3, first 2 shown]
	v_dual_cndmask_b32 v20, -v20, v20, s19 :: v_dual_cndmask_b32 v23, -v23, v23, s19
	s_wait_dscnt 0x5
	v_add_f32_e32 v18, v18, v27
	ds_bpermute_b32 v39, v42, v25
	v_add_f32_e32 v27, v21, v28
	v_dual_cndmask_b32 v21, -v24, v24, s18 :: v_dual_add_f32 v28, v77, v22
	s_wait_dscnt 0x5
	v_dual_add_f32 v24, v19, v30 :: v_dual_add_f32 v30, v80, v79
	v_cndmask_b32_e64 v25, -v25, v25, s18
	ds_bpermute_b32 v41, v1, v27
	ds_bpermute_b32 v49, v74, v28
	;; [unrolled: 1-line block ×4, first 2 shown]
	s_wait_dscnt 0x8
	v_dual_add_f32 v19, v26, v29 :: v_dual_sub_f32 v22, v77, v22
	v_dual_sub_f32 v29, v80, v79 :: v_dual_cndmask_b32 v30, -v30, v30, s17
	s_wait_dscnt 0x6
	v_dual_add_f32 v31, v21, v31 :: v_dual_add_f32 v20, v20, v32
	s_wait_dscnt 0x5
	v_dual_add_f32 v21, v23, v33 :: v_dual_cndmask_b32 v24, -v24, v24, s18
	v_dual_cndmask_b32 v27, -v27, v27, s1 :: v_dual_cndmask_b32 v28, -v28, v28, s17
	s_wait_dscnt 0x4
	v_add_f32_e32 v23, v25, v39
	v_cndmask_b32_e64 v26, -v31, v31, s19
	ds_bpermute_b32 v25, v45, v31
	ds_bpermute_b32 v31, v74, v22
	;; [unrolled: 1-line block ×3, first 2 shown]
	v_dual_cndmask_b32 v76, -v22, v22, s17 :: v_dual_cndmask_b32 v29, -v29, v29, s17
	s_wait_dscnt 0x4
	v_dual_add_f32 v27, v27, v41 :: v_dual_add_f32 v24, v24, v48
	s_wait_dscnt 0x3
	v_dual_add_f32 v28, v28, v49 :: v_dual_add_f32 v30, v30, v50
	v_dual_add_f32 v41, v81, v51 :: v_dual_add_f32 v48, v83, v82
	ds_bpermute_b32 v39, v75, v27
	ds_bpermute_b32 v49, v1, v28
	;; [unrolled: 1-line block ×6, first 2 shown]
	v_cndmask_b32_e64 v23, -v23, v23, s19
	v_dual_cndmask_b32 v27, -v27, v27, s16 :: v_dual_cndmask_b32 v28, -v28, v28, s1
	s_wait_dscnt 0x7
	v_dual_add_f32 v22, v26, v25 :: v_dual_add_f32 v26, v76, v31
	s_wait_dscnt 0x6
	v_add_f32_e32 v29, v29, v32
	v_dual_sub_f32 v31, v81, v51 :: v_dual_cndmask_b32 v30, -v30, v30, s1
	v_dual_cndmask_b32 v41, -v41, v41, s17 :: v_dual_cndmask_b32 v48, -v48, v48, s17
	ds_bpermute_b32 v32, v1, v26
	ds_bpermute_b32 v51, v1, v29
	;; [unrolled: 1-line block ×3, first 2 shown]
	s_wait_dscnt 0x8
	v_dual_cndmask_b32 v29, -v29, v29, s1 :: v_dual_add_f32 v27, v27, v39
	s_wait_dscnt 0x6
	v_dual_add_f32 v28, v28, v49 :: v_dual_add_f32 v30, v30, v50
	s_wait_dscnt 0x4
	v_dual_add_f32 v39, v41, v77 :: v_dual_add_f32 v41, v48, v78
	ds_bpermute_b32 v25, v45, v24
	ds_bpermute_b32 v48, v75, v28
	;; [unrolled: 1-line block ×5, first 2 shown]
	v_dual_cndmask_b32 v26, -v26, v26, s1 :: v_dual_cndmask_b32 v24, -v24, v24, s19
	v_dual_cndmask_b32 v31, -v31, v31, s17 :: v_dual_cndmask_b32 v28, -v28, v28, s16
	;; [unrolled: 1-line block ×3, first 2 shown]
	s_wait_dscnt 0x6
	s_delay_alu instid0(VALU_DEP_3)
	v_dual_add_f32 v26, v26, v32 :: v_dual_add_f32 v29, v29, v51
	s_wait_dscnt 0x5
	v_dual_add_f32 v31, v31, v76 :: v_dual_cndmask_b32 v41, -v41, v41, s1
	v_sub_f32_e32 v32, v83, v82
	ds_bpermute_b32 v78, v42, v27
	ds_bpermute_b32 v51, v75, v26
	;; [unrolled: 1-line block ×4, first 2 shown]
	s_wait_dscnt 0x7
	v_dual_cndmask_b32 v27, -v27, v27, s18 :: v_dual_add_f32 v28, v28, v48
	ds_bpermute_b32 v80, v74, v32
	s_wait_dscnt 0x6
	v_dual_add_f32 v39, v39, v50 :: v_dual_add_f32 v30, v30, v49
	s_wait_dscnt 0x5
	v_add_f32_e32 v41, v41, v77
	ds_bpermute_b32 v48, v42, v28
	v_dual_cndmask_b32 v26, -v26, v26, s16 :: v_dual_cndmask_b32 v29, -v29, v29, s16
	ds_bpermute_b32 v49, v75, v39
	ds_bpermute_b32 v50, v75, v41
	v_dual_cndmask_b32 v31, -v31, v31, s1 :: v_dual_cndmask_b32 v32, -v32, v32, s17
	ds_bpermute_b32 v77, v42, v30
	v_dual_cndmask_b32 v39, -v39, v39, s16 :: v_dual_cndmask_b32 v28, -v28, v28, s18
	s_wait_dscnt 0x7
	v_dual_add_f32 v27, v27, v78 :: v_dual_add_f32 v26, v26, v51
	s_wait_dscnt 0x5
	v_dual_add_f32 v29, v29, v76 :: v_dual_add_f32 v31, v31, v79
	v_dual_cndmask_b32 v41, -v41, v41, s16 :: v_dual_cndmask_b32 v30, -v30, v30, s18
	s_wait_dscnt 0x4
	v_add_f32_e32 v32, v32, v80
	ds_bpermute_b32 v51, v42, v26
	ds_bpermute_b32 v76, v42, v29
	;; [unrolled: 1-line block ×3, first 2 shown]
	s_wait_dscnt 0x6
	v_add_f32_e32 v28, v28, v48
	ds_bpermute_b32 v79, v1, v32
	ds_bpermute_b32 v80, v45, v27
	s_wait_dscnt 0x6
	v_dual_add_f32 v39, v39, v49 :: v_dual_add_f32 v41, v41, v50
	v_dual_cndmask_b32 v26, -v26, v26, s18 :: v_dual_cndmask_b32 v29, -v29, v29, s18
	s_wait_dscnt 0x5
	v_dual_add_f32 v30, v30, v77 :: v_dual_cndmask_b32 v31, -v31, v31, s16
	ds_bpermute_b32 v48, v42, v39
	ds_bpermute_b32 v49, v42, v41
	v_dual_cndmask_b32 v32, -v32, v32, s1 :: v_dual_cndmask_b32 v41, -v41, v41, s18
	ds_bpermute_b32 v50, v45, v28
	v_dual_cndmask_b32 v27, -v27, v27, s19 :: v_dual_add_f32 v24, v24, v25
	s_wait_dscnt 0x7
	v_dual_sub_f32 v83, v73, v72 :: v_dual_add_f32 v51, v26, v51
	s_wait_dscnt 0x5
	v_dual_add_f32 v29, v29, v76 :: v_dual_add_f32 v31, v31, v78
	v_cndmask_b32_e64 v26, -v39, v39, s18
	s_wait_dscnt 0x4
	v_dual_add_f32 v32, v32, v79 :: v_dual_add_f32 v23, v23, v33
	ds_bpermute_b32 v76, v45, v30
	ds_bpermute_b32 v39, v42, v31
	;; [unrolled: 1-line block ×4, first 2 shown]
	v_dual_cndmask_b32 v31, -v31, v31, s18 :: v_dual_cndmask_b32 v29, -v29, v29, s19
	s_wait_dscnt 0x5
	v_dual_add_f32 v33, v26, v48 :: v_dual_add_f32 v41, v41, v49
	v_cndmask_b32_e64 v26, -v28, v28, s19
	v_dual_add_f32 v25, v27, v80 :: v_dual_cndmask_b32 v27, -v30, v30, s19
	ds_bpermute_b32 v30, v45, v33
	ds_bpermute_b32 v80, v45, v41
	v_dual_cndmask_b32 v28, -v51, v51, s19 :: v_dual_cndmask_b32 v32, -v32, v32, s16
	ds_bpermute_b32 v77, v45, v51
	s_wait_dscnt 0x7
	v_dual_add_f32 v26, v26, v50 :: v_dual_cndmask_b32 v41, -v41, v41, s19
	s_wait_dscnt 0x6
	v_dual_mov_b32 v48, v72 :: v_dual_add_f32 v27, v27, v76
	s_wait_dscnt 0x4
	v_dual_add_f32 v39, v31, v39 :: v_dual_add_f32 v29, v29, v78
	s_wait_dscnt 0x3
	v_dual_add_f32 v50, v32, v79 :: v_dual_cndmask_b32 v31, -v33, v33, s19
	v_dual_mov_b32 v32, v73 :: v_dual_mov_b32 v33, v70
	v_mov_b32_e32 v49, v71
	ds_bpermute_b32 v81, v45, v39
	ds_bpermute_b32 v82, v42, v50
	v_sub_f32_e32 v71, v71, v70
	s_wait_dscnt 0x3
	v_dual_add_f32 v30, v31, v30 :: v_dual_add_f32 v31, v41, v80
	v_pk_add_f32 v[48:49], v[48:49], v[32:33]
	v_dual_cndmask_b32 v39, -v39, v39, s19 :: v_dual_cndmask_b32 v33, -v50, v50, s18
	ds_bpermute_b32 v72, v74, v83
	ds_bpermute_b32 v73, v74, v71
	;; [unrolled: 1-line block ×4, first 2 shown]
	s_wait_dscnt 0x6
	v_dual_add_f32 v28, v28, v77 :: v_dual_lshrrev_b32 v41, 5, v0
	v_dual_mov_b32 v76, v67 :: v_dual_mov_b32 v77, v68
	s_delay_alu instid0(VALU_DEP_2)
	v_dual_mov_b32 v78, v66 :: v_dual_bitop2_b32 v41, v41, v0 bitop3:0x14
	v_mov_b32_e32 v79, v69
	v_cndmask_b32_e64 v49, -v49, v49, s17
	s_wait_dscnt 0x4
	v_dual_add_f32 v32, v39, v81 :: v_dual_add_f32 v33, v33, v82
	v_cndmask_b32_e64 v48, -v48, v48, s17
	v_pk_add_f32 v[76:77], v[78:79], v[76:77]
	v_cndmask_b32_e64 v79, -v71, v71, s17
	v_cndmask_b32_e64 v78, -v83, v83, s17
	v_sub_f32_e32 v39, v67, v66
	ds_bpermute_b32 v71, v45, v33
	v_cndmask_b32_e64 v33, -v33, v33, s19
	v_lshl_add_u32 v70, v41, 4, 0
	s_wait_dscnt 0x3
	v_pk_add_f32 v[66:67], v[78:79], v[72:73]
	s_wait_dscnt 0x1
	v_pk_add_f32 v[48:49], v[48:49], v[50:51]
	v_sub_f32_e32 v41, v69, v68
	ds_bpermute_b32 v80, v74, v76
	ds_bpermute_b32 v81, v74, v77
	;; [unrolled: 1-line block ×8, first 2 shown]
	v_dual_lshrrev_b32 v83, 3, v0 :: v_dual_bitop2_b32 v82, 7, v0 bitop3:0x40
	v_dual_cndmask_b32 v49, -v49, v49, s1 :: v_dual_cndmask_b32 v48, -v48, v48, s1
	v_dual_cndmask_b32 v67, -v67, v67, s1 :: v_dual_cndmask_b32 v66, -v66, v66, s1
	;; [unrolled: 1-line block ×4, first 2 shown]
	s_wait_dscnt 0x8
	v_dual_lshlrev_b32 v39, 5, v82 :: v_dual_add_f32 v33, v33, v71
	ds_store_b128 v70, v[2:5]
	ds_store_b128 v70, v[6:9] offset:4096
	s_wait_dscnt 0x8
	v_pk_add_f32 v[76:77], v[76:77], v[80:81]
	ds_store_b128 v70, v[10:13] offset:8192
	ds_store_b128 v70, v[14:17] offset:12288
	v_bitop3_b32 v39, v39, v82, v83 bitop3:0x36
	s_wait_dscnt 0x7
	v_pk_add_f32 v[48:49], v[48:49], v[68:69]
	s_wait_dscnt 0x6
	v_pk_add_f32 v[72:73], v[66:67], v[72:73]
	v_dual_mov_b32 v16, v62 :: v_dual_mov_b32 v17, v65
	s_wait_dscnt 0x4
	v_pk_add_f32 v[50:51], v[78:79], v[50:51]
	ds_bpermute_b32 v80, v75, v48
	ds_bpermute_b32 v81, v75, v49
	;; [unrolled: 1-line block ×6, first 2 shown]
	v_dual_cndmask_b32 v7, -v49, v49, s16 :: v_dual_cndmask_b32 v6, -v48, v48, s16
	v_dual_cndmask_b32 v9, -v73, v73, s16 :: v_dual_cndmask_b32 v8, -v72, v72, s16
	ds_bpermute_b32 v68, v1, v50
	ds_bpermute_b32 v69, v1, v51
	v_dual_cndmask_b32 v77, -v77, v77, s1 :: v_dual_cndmask_b32 v76, -v76, v76, s1
	v_dual_cndmask_b32 v3, -v51, v51, s1 :: v_dual_cndmask_b32 v2, -v50, v50, s1
	ds_store_b128 v70, v[18:21] offset:16384
	ds_store_b128 v70, v[22:25] offset:20480
	;; [unrolled: 1-line block ×4, first 2 shown]
	v_lshl_add_u32 v66, v39, 4, 0
	v_dual_sub_f32 v39, v63, v62 :: v_dual_sub_f32 v41, v65, v64
	s_wait_dscnt 0xa
	v_pk_add_f32 v[6:7], v[6:7], v[80:81]
	s_wait_dscnt 0x0
	v_pk_add_f32 v[8:9], v[8:9], v[82:83]
	ds_bpermute_b32 v32, v74, v39
	v_pk_add_f32 v[4:5], v[76:77], v[78:79]
	ds_bpermute_b32 v10, v42, v6
	ds_bpermute_b32 v11, v42, v7
	;; [unrolled: 1-line block ×6, first 2 shown]
	v_pk_add_f32 v[2:3], v[2:3], v[68:69]
	v_dual_cndmask_b32 v7, -v7, v7, s18 :: v_dual_cndmask_b32 v6, -v6, v6, s18
	v_dual_cndmask_b32 v9, -v9, v9, s18 :: v_dual_cndmask_b32 v8, -v8, v8, s18
	ds_bpermute_b32 v50, v75, v2
	ds_bpermute_b32 v51, v75, v3
	v_dual_cndmask_b32 v5, -v5, v5, s16 :: v_dual_cndmask_b32 v4, -v4, v4, s16
	v_dual_cndmask_b32 v3, -v3, v3, s16 :: v_dual_cndmask_b32 v2, -v2, v2, s16
	ds_bpermute_b32 v33, v74, v41
	v_dual_mov_b32 v76, v59 :: v_dual_mov_b32 v77, v60
	v_dual_mov_b32 v78, v58 :: v_dual_mov_b32 v79, v61
	s_wait_dscnt 0x7
	v_pk_add_f32 v[6:7], v[6:7], v[10:11]
	s_wait_dscnt 0x5
	v_pk_add_f32 v[8:9], v[8:9], v[12:13]
	v_dual_mov_b32 v12, v63 :: v_dual_mov_b32 v13, v64
	s_wait_dscnt 0x3
	v_pk_add_f32 v[4:5], v[4:5], v[48:49]
	ds_bpermute_b32 v18, v45, v6
	ds_bpermute_b32 v19, v45, v7
	;; [unrolled: 1-line block ×3, first 2 shown]
	v_pk_add_f32 v[24:25], v[16:17], v[12:13]
	ds_bpermute_b32 v14, v42, v4
	ds_bpermute_b32 v15, v42, v5
	s_wait_dscnt 0x6
	v_pk_add_f32 v[2:3], v[2:3], v[50:51]
	ds_bpermute_b32 v21, v45, v9
	ds_bpermute_b32 v30, v74, v24
	;; [unrolled: 1-line block ×3, first 2 shown]
	v_dual_cndmask_b32 v23, -v7, v7, s19 :: v_dual_cndmask_b32 v5, -v5, v5, s18
	v_dual_cndmask_b32 v4, -v4, v4, s18 :: v_dual_cndmask_b32 v22, -v6, v6, s19
	ds_bpermute_b32 v10, v42, v2
	ds_bpermute_b32 v11, v42, v3
	v_dual_cndmask_b32 v51, -v9, v9, s19 :: v_dual_cndmask_b32 v50, -v8, v8, s19
	v_dual_cndmask_b32 v3, -v3, v3, s18 :: v_dual_cndmask_b32 v2, -v2, v2, s18
	v_pk_add_f32 v[76:77], v[78:79], v[76:77]
	s_wait_dscnt 0x8
	v_pk_add_f32 v[48:49], v[22:23], v[18:19]
	v_dual_cndmask_b32 v19, -v25, v25, s17 :: v_dual_cndmask_b32 v18, -v24, v24, s17
	v_dual_cndmask_b32 v23, -v41, v41, s17 :: v_dual_cndmask_b32 v22, -v39, v39, s17
	s_wait_dscnt 0x5
	v_pk_add_f32 v[26:27], v[4:5], v[14:15]
	s_wait_dscnt 0x4
	v_pk_add_f32 v[50:51], v[50:51], v[20:21]
	v_sub_f32_e32 v39, v61, v60
	s_wait_dscnt 0x2
	v_pk_add_f32 v[18:19], v[18:19], v[30:31]
	v_sub_f32_e32 v41, v59, v58
	ds_bpermute_b32 v62, v45, v26
	ds_bpermute_b32 v63, v45, v27
	v_dual_cndmask_b32 v21, -v27, v27, s19 :: v_dual_cndmask_b32 v20, -v26, v26, s19
	ds_bpermute_b32 v68, v1, v18
	ds_bpermute_b32 v69, v1, v19
	v_pk_add_f32 v[26:27], v[22:23], v[32:33]
	s_wait_dscnt 0x4
	v_pk_add_f32 v[28:29], v[2:3], v[10:11]
	v_dual_cndmask_b32 v79, -v19, v19, s1 :: v_dual_cndmask_b32 v78, -v18, v18, s1
	ds_bpermute_b32 v58, v74, v76
	ds_bpermute_b32 v72, v1, v26
	ds_bpermute_b32 v73, v1, v27
	ds_bpermute_b32 v64, v45, v28
	ds_bpermute_b32 v65, v45, v29
	v_cndmask_b32_e64 v81, -v27, v27, s1
	ds_bpermute_b32 v59, v74, v77
	v_dual_cndmask_b32 v77, -v77, v77, s17 :: v_dual_cndmask_b32 v80, -v26, v26, s1
	v_dual_cndmask_b32 v76, -v76, v76, s17 :: v_dual_cndmask_b32 v29, -v29, v29, s19
	v_cndmask_b32_e64 v28, -v28, v28, s19
	s_wait_dscnt 0x8
	v_pk_add_f32 v[62:63], v[20:21], v[62:63]
	s_barrier_signal -1
	s_barrier_wait -1
	s_wait_dscnt 0x6
	v_pk_add_f32 v[60:61], v[78:79], v[68:69]
	ds_bpermute_b32 v68, v74, v41
	ds_bpermute_b32 v69, v74, v39
	s_wait_dscnt 0x0
	ds_load_b128 v[14:17], v66
	ds_load_b128 v[10:13], v66 offset:4096
	ds_load_b128 v[6:9], v66 offset:8192
	;; [unrolled: 1-line block ×5, first 2 shown]
	ds_bpermute_b32 v78, v75, v60
	v_pk_add_f32 v[72:73], v[80:81], v[72:73]
	ds_bpermute_b32 v79, v75, v61
	v_pk_add_f32 v[64:65], v[28:29], v[64:65]
	ds_load_b128 v[26:29], v66 offset:24576
	ds_load_b128 v[18:21], v66 offset:28672
	s_wait_dscnt 0x0
	s_barrier_signal -1
	ds_bpermute_b32 v80, v75, v72
	ds_bpermute_b32 v81, v75, v73
	s_barrier_wait -1
	s_wait_dscnt 0x0
	ds_store_b128 v70, v[48:51]
	ds_store_b128 v70, v[62:65] offset:4096
	v_dual_cndmask_b32 v49, -v39, v39, s17 :: v_dual_cndmask_b32 v48, -v41, v41, s17
	v_pk_add_f32 v[50:51], v[76:77], v[58:59]
	v_dual_cndmask_b32 v59, -v61, v61, s16 :: v_dual_cndmask_b32 v58, -v60, v60, s16
	v_dual_cndmask_b32 v61, -v73, v73, s16 :: v_dual_cndmask_b32 v60, -v72, v72, s16
	s_delay_alu instid0(VALU_DEP_4)
	v_pk_add_f32 v[48:49], v[48:49], v[68:69]
	ds_bpermute_b32 v62, v1, v50
	ds_bpermute_b32 v63, v1, v51
	v_dual_mov_b32 v68, v35 :: v_dual_mov_b32 v69, v36
	ds_bpermute_b32 v64, v1, v48
	ds_bpermute_b32 v65, v1, v49
	v_dual_mov_b32 v72, v34 :: v_dual_mov_b32 v73, v37
	v_pk_add_f32 v[58:59], v[58:59], v[78:79]
	v_pk_add_f32 v[60:61], v[60:61], v[80:81]
	v_dual_cndmask_b32 v51, -v51, v51, s1 :: v_dual_cndmask_b32 v50, -v50, v50, s1
	s_delay_alu instid0(VALU_DEP_4)
	v_pk_add_f32 v[68:69], v[72:73], v[68:69]
	ds_bpermute_b32 v77, v42, v59
	v_dual_cndmask_b32 v49, -v49, v49, s1 :: v_dual_cndmask_b32 v48, -v48, v48, s1
	ds_bpermute_b32 v72, v42, v60
	ds_bpermute_b32 v78, v74, v68
	;; [unrolled: 1-line block ×4, first 2 shown]
	v_dual_cndmask_b32 v59, -v59, v59, s18 :: v_dual_sub_f32 v41, v37, v36
	v_dual_sub_f32 v39, v35, v34 :: v_dual_cndmask_b32 v37, -v61, v61, s18
	ds_bpermute_b32 v76, v42, v58
	s_wait_dscnt 0x8
	v_pk_add_f32 v[50:51], v[50:51], v[62:63]
	s_wait_dscnt 0x6
	v_pk_add_f32 v[34:35], v[48:49], v[64:65]
	ds_bpermute_b32 v48, v74, v39
	ds_bpermute_b32 v49, v74, v41
	v_dual_cndmask_b32 v58, -v58, v58, s18 :: v_dual_cndmask_b32 v36, -v60, v60, s18
	ds_bpermute_b32 v62, v75, v50
	ds_bpermute_b32 v63, v75, v51
	v_dual_cndmask_b32 v61, -v69, v69, s17 :: v_dual_cndmask_b32 v60, -v68, v68, s17
	ds_bpermute_b32 v64, v75, v34
	ds_bpermute_b32 v65, v75, v35
	v_dual_cndmask_b32 v51, -v51, v51, s16 :: v_dual_cndmask_b32 v50, -v50, v50, s16
	s_wait_dscnt 0x8
	v_pk_add_f32 v[60:61], v[60:61], v[78:79]
	s_wait_dscnt 0x7
	v_pk_add_f32 v[36:37], v[36:37], v[72:73]
	v_dual_cndmask_b32 v73, -v41, v41, s17 :: v_dual_cndmask_b32 v72, -v39, v39, s17
	v_dual_cndmask_b32 v35, -v35, v35, s16 :: v_dual_cndmask_b32 v34, -v34, v34, s16
	s_wait_dscnt 0x6
	v_pk_add_f32 v[58:59], v[58:59], v[76:77]
	ds_bpermute_b32 v76, v1, v60
	ds_bpermute_b32 v77, v1, v61
	s_wait_dscnt 0x6
	v_pk_add_f32 v[48:49], v[72:73], v[48:49]
	v_dual_cndmask_b32 v61, -v61, v61, s1 :: v_dual_cndmask_b32 v60, -v60, v60, s1
	ds_bpermute_b32 v68, v45, v58
	s_wait_dscnt 0x5
	v_pk_add_f32 v[50:51], v[50:51], v[62:63]
	ds_bpermute_b32 v62, v1, v48
	ds_bpermute_b32 v63, v1, v49
	;; [unrolled: 1-line block ×3, first 2 shown]
	s_wait_dscnt 0x6
	v_pk_add_f32 v[34:35], v[34:35], v[64:65]
	ds_bpermute_b32 v72, v42, v50
	v_dual_cndmask_b32 v50, -v50, v50, s18 :: v_dual_cndmask_b32 v49, -v49, v49, s1
	v_dual_cndmask_b32 v48, -v48, v48, s1 :: v_dual_cndmask_b32 v81, -v35, v35, s18
	;; [unrolled: 1-line block ×3, first 2 shown]
	ds_bpermute_b32 v73, v42, v51
	ds_bpermute_b32 v78, v45, v36
	;; [unrolled: 1-line block ×3, first 2 shown]
	s_wait_dscnt 0x8
	v_pk_add_f32 v[60:61], v[60:61], v[76:77]
	ds_bpermute_b32 v65, v42, v35
	v_dual_cndmask_b32 v36, -v36, v36, s19 :: v_dual_cndmask_b32 v80, -v34, v34, s18
	ds_bpermute_b32 v79, v45, v37
	ds_bpermute_b32 v76, v75, v60
	;; [unrolled: 1-line block ×3, first 2 shown]
	s_wait_dscnt 0x9
	v_pk_add_f32 v[48:49], v[48:49], v[62:63]
	s_wait_dscnt 0x8
	v_pk_add_f32 v[34:35], v[58:59], v[68:69]
	v_dual_mov_b32 v62, v55 :: v_dual_mov_b32 v63, v56
	v_dual_mov_b32 v68, v54 :: v_dual_mov_b32 v69, v57
	ds_bpermute_b32 v58, v75, v48
	ds_bpermute_b32 v59, v75, v49
	v_dual_cndmask_b32 v61, -v61, v61, s16 :: v_dual_cndmask_b32 v60, -v60, v60, s16
	v_pk_add_f32 v[62:63], v[68:69], v[62:63]
	v_dual_cndmask_b32 v37, -v37, v37, s19 :: v_dual_cndmask_b32 v51, -v51, v51, s18
	v_dual_cndmask_b32 v49, -v49, v49, s16 :: v_dual_cndmask_b32 v48, -v48, v48, s16
	ds_bpermute_b32 v68, v74, v62
	ds_bpermute_b32 v69, v74, v63
	v_dual_sub_f32 v39, v55, v54 :: v_dual_sub_f32 v41, v57, v56
	s_wait_dscnt 0x4
	v_pk_add_f32 v[60:61], v[60:61], v[76:77]
	v_pk_add_f32 v[50:51], v[50:51], v[72:73]
	;; [unrolled: 1-line block ×3, first 2 shown]
	v_dual_cndmask_b32 v63, -v63, v63, s17 :: v_dual_cndmask_b32 v62, -v62, v62, s17
	ds_bpermute_b32 v54, v42, v60
	ds_bpermute_b32 v55, v42, v61
	;; [unrolled: 1-line block ×3, first 2 shown]
	s_wait_dscnt 0x5
	v_pk_add_f32 v[48:49], v[48:49], v[58:59]
	ds_bpermute_b32 v73, v45, v51
	ds_bpermute_b32 v58, v45, v64
	;; [unrolled: 1-line block ×7, first 2 shown]
	v_dual_cndmask_b32 v61, -v61, v61, s18 :: v_dual_cndmask_b32 v60, -v60, v60, s18
	s_wait_dscnt 0xa
	v_pk_add_f32 v[62:63], v[62:63], v[68:69]
	v_dual_cndmask_b32 v51, -v51, v51, s19 :: v_dual_cndmask_b32 v50, -v50, v50, s19
	v_dual_cndmask_b32 v65, -v65, v65, s19 :: v_dual_cndmask_b32 v64, -v64, v64, s19
	;; [unrolled: 1-line block ×3, first 2 shown]
	v_pk_add_f32 v[36:37], v[36:37], v[78:79]
	s_wait_dscnt 0x8
	v_pk_add_f32 v[54:55], v[60:61], v[54:55]
	ds_bpermute_b32 v60, v1, v62
	ds_bpermute_b32 v61, v1, v63
	v_dual_cndmask_b32 v79, -v41, v41, s17 :: v_dual_cndmask_b32 v78, -v39, v39, s17
	s_wait_dscnt 0x8
	v_pk_add_f32 v[48:49], v[50:51], v[72:73]
	s_wait_dscnt 0x6
	v_pk_add_f32 v[50:51], v[64:65], v[58:59]
	v_dual_mov_b32 v72, v47 :: v_dual_mov_b32 v73, v52
	s_wait_dscnt 0x3
	v_pk_add_f32 v[64:65], v[68:69], v[76:77]
	v_dual_mov_b32 v76, v46 :: v_dual_mov_b32 v77, v53
	;; [unrolled: 3-line block ×3, first 2 shown]
	v_dual_cndmask_b32 v63, -v63, v63, s1 :: v_dual_cndmask_b32 v62, -v62, v62, s1
	v_pk_add_f32 v[72:73], v[76:77], v[72:73]
	v_dual_sub_f32 v67, v47, v46 :: v_dual_sub_f32 v71, v53, v52
	ds_bpermute_b32 v58, v1, v56
	ds_bpermute_b32 v59, v1, v57
	;; [unrolled: 1-line block ×4, first 2 shown]
	v_sub_f32_e32 v43, v43, v44
	v_sub_f32_e32 v44, v38, v40
	v_pk_add_f32 v[38:39], v[40:41], v[38:39]
	s_wait_dscnt 0x4
	v_pk_add_f32 v[46:47], v[62:63], v[60:61]
	ds_bpermute_b32 v60, v74, v67
	ds_bpermute_b32 v61, v74, v71
	v_dual_cndmask_b32 v41, -v73, v73, s17 :: v_dual_cndmask_b32 v40, -v72, v72, s17
	v_cndmask_b32_e64 v62, -v67, v67, s17
	v_cndmask_b32_e64 v63, -v71, v71, s17
	ds_bpermute_b32 v72, v74, v38
	ds_bpermute_b32 v73, v74, v39
	;; [unrolled: 1-line block ×4, first 2 shown]
	v_dual_cndmask_b32 v57, -v57, v57, s1 :: v_dual_cndmask_b32 v56, -v56, v56, s1
	v_dual_cndmask_b32 v39, -v39, v39, s17 :: v_dual_cndmask_b32 v38, -v38, v38, s17
	;; [unrolled: 1-line block ×3, first 2 shown]
	s_wait_dscnt 0x8
	s_delay_alu instid0(VALU_DEP_3)
	v_pk_add_f32 v[56:57], v[56:57], v[58:59]
	s_wait_dscnt 0x6
	v_pk_add_f32 v[40:41], v[40:41], v[52:53]
	ds_bpermute_b32 v58, v75, v46
	ds_bpermute_b32 v59, v75, v47
	v_dual_cndmask_b32 v47, -v47, v47, s16 :: v_dual_cndmask_b32 v46, -v46, v46, s16
	s_wait_dscnt 0x6
	v_pk_add_f32 v[52:53], v[62:63], v[60:61]
	ds_bpermute_b32 v60, v75, v56
	ds_bpermute_b32 v61, v75, v57
	;; [unrolled: 1-line block ×4, first 2 shown]
	s_wait_dscnt 0x8
	v_pk_add_f32 v[38:39], v[38:39], v[72:73]
	ds_bpermute_b32 v80, v1, v52
	s_wait_dscnt 0x7
	v_pk_add_f32 v[72:73], v[82:83], v[78:79]
	ds_bpermute_b32 v81, v1, v53
	v_dual_cndmask_b32 v41, -v41, v41, s1 :: v_dual_cndmask_b32 v40, -v40, v40, s1
	ds_bpermute_b32 v78, v1, v38
	ds_bpermute_b32 v79, v1, v39
	;; [unrolled: 1-line block ×4, first 2 shown]
	v_dual_cndmask_b32 v57, -v57, v57, s16 :: v_dual_cndmask_b32 v56, -v56, v56, s16
	v_dual_cndmask_b32 v53, -v53, v53, s1 :: v_dual_cndmask_b32 v52, -v52, v52, s1
	v_dual_cndmask_b32 v43, -v65, v65, s19 :: v_dual_cndmask_b32 v39, -v39, v39, s1
	s_wait_dscnt 0xa
	v_pk_add_f32 v[46:47], v[46:47], v[58:59]
	s_wait_dscnt 0x8
	v_pk_add_f32 v[56:57], v[56:57], v[60:61]
	v_dual_cndmask_b32 v38, -v38, v38, s1 :: v_dual_cndmask_b32 v61, -v73, v73, s1
	s_wait_dscnt 0x6
	v_pk_add_f32 v[40:41], v[40:41], v[62:63]
	v_cndmask_b32_e64 v60, -v72, v72, s1
	ds_bpermute_b32 v73, v42, v47
	s_wait_dscnt 0x5
	v_pk_add_f32 v[52:53], v[52:53], v[80:81]
	v_cndmask_b32_e64 v47, -v47, v47, s18
	ds_bpermute_b32 v58, v75, v40
	ds_bpermute_b32 v59, v75, v41
	s_wait_dscnt 0x5
	v_pk_add_f32 v[38:39], v[38:39], v[78:79]
	ds_bpermute_b32 v62, v75, v52
	s_wait_dscnt 0x4
	v_pk_add_f32 v[60:61], v[60:61], v[82:83]
	ds_bpermute_b32 v63, v75, v53
	ds_bpermute_b32 v72, v42, v46
	ds_bpermute_b32 v80, v75, v38
	ds_bpermute_b32 v81, v75, v39
	ds_bpermute_b32 v82, v75, v60
	ds_bpermute_b32 v83, v75, v61
	v_dual_cndmask_b32 v41, -v41, v41, s16 :: v_dual_cndmask_b32 v40, -v40, v40, s16
	v_dual_cndmask_b32 v53, -v53, v53, s16 :: v_dual_cndmask_b32 v52, -v52, v52, s16
	ds_bpermute_b32 v78, v42, v56
	v_dual_cndmask_b32 v56, -v56, v56, s18 :: v_dual_cndmask_b32 v39, -v39, v39, s16
	v_cndmask_b32_e64 v38, -v38, v38, s16
	v_cndmask_b32_e64 v46, -v46, v46, s18
	ds_bpermute_b32 v79, v42, v57
	s_wait_dscnt 0x9
	v_pk_add_f32 v[40:41], v[40:41], v[58:59]
	v_dual_cndmask_b32 v59, -v61, v61, s16 :: v_dual_cndmask_b32 v58, -v60, v60, s16
	v_cndmask_b32_e64 v57, -v57, v57, s18
	s_wait_dscnt 0x7
	v_pk_add_f32 v[52:53], v[52:53], v[62:63]
	ds_bpermute_b32 v60, v42, v40
	ds_bpermute_b32 v61, v42, v41
	s_wait_dscnt 0x6
	v_pk_add_f32 v[38:39], v[38:39], v[80:81]
	v_cndmask_b32_e64 v41, -v41, v41, s18
	s_wait_dscnt 0x4
	v_pk_add_f32 v[58:59], v[58:59], v[82:83]
	ds_bpermute_b32 v62, v42, v52
	ds_bpermute_b32 v63, v42, v53
	v_pk_add_f32 v[46:47], v[46:47], v[72:73]
	ds_bpermute_b32 v72, v42, v38
	ds_bpermute_b32 v73, v42, v39
	;; [unrolled: 1-line block ×4, first 2 shown]
	v_dual_cndmask_b32 v40, -v40, v40, s18 :: v_dual_cndmask_b32 v39, -v39, v39, s18
	v_dual_cndmask_b32 v42, -v64, v64, s19 :: v_dual_cndmask_b32 v53, -v53, v53, s18
	;; [unrolled: 1-line block ×3, first 2 shown]
	s_wait_dscnt 0x8
	v_pk_add_f32 v[56:57], v[56:57], v[78:79]
	ds_bpermute_b32 v68, v45, v54
	ds_bpermute_b32 v69, v45, v55
	s_wait_dscnt 0x8
	v_pk_add_f32 v[60:61], v[40:41], v[60:61]
	v_dual_cndmask_b32 v41, -v59, v59, s18 :: v_dual_cndmask_b32 v40, -v58, v58, s18
	ds_bpermute_b32 v76, v45, v64
	ds_bpermute_b32 v77, v45, v65
	s_wait_dscnt 0x8
	v_pk_add_f32 v[52:53], v[52:53], v[62:63]
	ds_bpermute_b32 v64, v45, v46
	ds_bpermute_b32 v65, v45, v47
	s_wait_dscnt 0x8
	v_pk_add_f32 v[62:63], v[38:39], v[72:73]
	ds_bpermute_b32 v78, v45, v56
	s_wait_dscnt 0x7
	v_pk_add_f32 v[72:73], v[40:41], v[80:81]
	ds_bpermute_b32 v79, v45, v57
	ds_bpermute_b32 v58, v45, v60
	;; [unrolled: 1-line block ×9, first 2 shown]
	v_dual_cndmask_b32 v55, -v55, v55, s19 :: v_dual_cndmask_b32 v54, -v54, v54, s19
	v_dual_cndmask_b32 v45, -v47, v47, s19 :: v_dual_cndmask_b32 v44, -v46, v46, s19
	;; [unrolled: 1-line block ×3, first 2 shown]
	s_wait_dscnt 0xe
	s_delay_alu instid0(VALU_DEP_3)
	v_pk_add_f32 v[38:39], v[54:55], v[68:69]
	v_dual_cndmask_b32 v55, -v61, v61, s19 :: v_dual_cndmask_b32 v54, -v60, v60, s19
	v_dual_cndmask_b32 v57, -v53, v53, s19 :: v_dual_cndmask_b32 v56, -v52, v52, s19
	;; [unrolled: 1-line block ×4, first 2 shown]
	s_wait_dscnt 0xc
	v_pk_add_f32 v[40:41], v[42:43], v[76:77]
	s_wait_dscnt 0xa
	v_pk_add_f32 v[42:43], v[44:45], v[64:65]
	;; [unrolled: 2-line block ×7, first 2 shown]
	ds_store_b128 v70, v[34:37] offset:8192
	ds_store_b128 v70, v[48:51] offset:12288
	;; [unrolled: 1-line block ×6, first 2 shown]
	s_wait_dscnt 0x0
	s_barrier_signal -1
	s_barrier_wait -1
	ds_load_b128 v[34:37], v66
	ds_load_b128 v[38:41], v66 offset:4096
	ds_bpermute_b32 v67, v74, v16
	ds_bpermute_b32 v71, v74, v17
	ds_bpermute_b32 v90, v74, v2
	v_dual_cndmask_b32 v91, -v2, v2, s17 :: v_dual_cndmask_b32 v93, -v3, v3, s17
	ds_bpermute_b32 v92, v74, v3
	ds_bpermute_b32 v94, v74, v4
	v_dual_cndmask_b32 v95, -v4, v4, s17 :: v_dual_cndmask_b32 v97, -v5, v5, s17
	v_dual_cndmask_b32 v16, -v16, v16, s17 :: v_dual_cndmask_b32 v17, -v17, v17, s17
	ds_bpermute_b32 v96, v74, v5
	ds_bpermute_b32 v108, v74, v20
	;; [unrolled: 1-line block ×7, first 2 shown]
	s_wait_dscnt 0xd
	ds_bpermute_b32 v44, v74, v36
	ds_bpermute_b32 v45, v74, v37
	ds_bpermute_b32 v42, v74, v34
	ds_bpermute_b32 v43, v74, v35
	v_dual_cndmask_b32 v37, -v37, v37, s17 :: v_dual_cndmask_b32 v36, -v36, v36, s17
	v_dual_cndmask_b32 v35, -v35, v35, s17 :: v_dual_cndmask_b32 v34, -v34, v34, s17
	s_wait_dscnt 0x10
	ds_bpermute_b32 v48, v74, v38
	ds_bpermute_b32 v49, v74, v39
	;; [unrolled: 1-line block ×4, first 2 shown]
	v_dual_cndmask_b32 v39, -v39, v39, s17 :: v_dual_cndmask_b32 v38, -v38, v38, s17
	v_dual_cndmask_b32 v41, -v41, v41, s17 :: v_dual_cndmask_b32 v40, -v40, v40, s17
	ds_bpermute_b32 v103, v74, v25
	ds_bpermute_b32 v104, v74, v26
	;; [unrolled: 1-line block ×5, first 2 shown]
	s_wait_dscnt 0xb
	v_pk_add_f32 v[44:45], v[36:37], v[44:45]
	v_dual_cndmask_b32 v30, -v30, v30, s17 :: v_dual_cndmask_b32 v31, -v31, v31, s17
	s_wait_dscnt 0x9
	v_pk_add_f32 v[42:43], v[34:35], v[42:43]
	ds_load_b128 v[34:37], v66 offset:8192
	ds_bpermute_b32 v50, v1, v44
	ds_bpermute_b32 v51, v1, v45
	v_dual_cndmask_b32 v45, -v45, v45, s1 :: v_dual_cndmask_b32 v44, -v44, v44, s1
	ds_bpermute_b32 v46, v1, v42
	ds_bpermute_b32 v47, v1, v43
	s_wait_dscnt 0xc
	v_pk_add_f32 v[38:39], v[38:39], v[48:49]
	s_wait_dscnt 0xa
	v_pk_add_f32 v[48:49], v[40:41], v[52:53]
	v_dual_cndmask_b32 v43, -v43, v43, s1 :: v_dual_cndmask_b32 v42, -v42, v42, s1
	v_dual_cndmask_b32 v32, -v32, v32, s17 :: v_dual_cndmask_b32 v33, -v33, v33, s17
	ds_bpermute_b32 v54, v1, v48
	ds_bpermute_b32 v55, v1, v49
	v_dual_cndmask_b32 v49, -v49, v49, s1 :: v_dual_cndmask_b32 v48, -v48, v48, s1
	v_cndmask_b32_e64 v22, -v22, v22, s17
	v_dual_cndmask_b32 v26, -v26, v26, s17 :: v_dual_cndmask_b32 v27, -v27, v27, s17
	v_dual_cndmask_b32 v28, -v28, v28, s17 :: v_dual_cndmask_b32 v29, -v29, v29, s17
	s_wait_dscnt 0x4
	v_pk_add_f32 v[44:45], v[44:45], v[50:51]
	ds_bpermute_b32 v50, v1, v38
	ds_bpermute_b32 v51, v1, v39
	v_dual_cndmask_b32 v39, -v39, v39, s1 :: v_dual_cndmask_b32 v38, -v38, v38, s1
	s_wait_dscnt 0x4
	v_pk_add_f32 v[46:47], v[42:43], v[46:47]
	ds_load_b128 v[40:43], v66 offset:12288
	ds_bpermute_b32 v56, v74, v34
	ds_bpermute_b32 v57, v74, v35
	;; [unrolled: 1-line block ×8, first 2 shown]
	v_dual_cndmask_b32 v35, -v35, v35, s17 :: v_dual_cndmask_b32 v34, -v34, v34, s17
	v_dual_cndmask_b32 v37, -v37, v37, s17 :: v_dual_cndmask_b32 v36, -v36, v36, s17
	s_wait_dscnt 0xb
	v_pk_add_f32 v[48:49], v[48:49], v[54:55]
	v_dual_cndmask_b32 v47, -v47, v47, s16 :: v_dual_cndmask_b32 v46, -v46, v46, s16
	s_wait_dscnt 0x9
	v_pk_add_f32 v[38:39], v[38:39], v[50:51]
	v_dual_cndmask_b32 v45, -v45, v45, s16 :: v_dual_cndmask_b32 v44, -v44, v44, s16
	v_cndmask_b32_e64 v25, -v25, v25, s17
	s_wait_dscnt 0x8
	ds_bpermute_b32 v68, v74, v40
	ds_bpermute_b32 v50, v75, v38
	s_wait_dscnt 0x8
	v_pk_add_f32 v[54:55], v[34:35], v[56:57]
	ds_bpermute_b32 v51, v75, v39
	s_wait_dscnt 0x7
	v_pk_add_f32 v[56:57], v[36:37], v[58:59]
	ds_bpermute_b32 v58, v75, v48
	ds_bpermute_b32 v59, v75, v49
	s_wait_dscnt 0x7
	v_pk_add_f32 v[34:35], v[46:47], v[52:53]
	s_wait_dscnt 0x5
	v_pk_add_f32 v[36:37], v[44:45], v[60:61]
	ds_bpermute_b32 v64, v1, v56
	ds_bpermute_b32 v65, v1, v57
	v_dual_cndmask_b32 v39, -v39, v39, s16 :: v_dual_cndmask_b32 v38, -v38, v38, s16
	v_dual_cndmask_b32 v49, -v49, v49, s16 :: v_dual_cndmask_b32 v48, -v48, v48, s16
	ds_load_b128 v[44:47], v66 offset:16384
	ds_bpermute_b32 v69, v74, v41
	ds_bpermute_b32 v52, v74, v42
	;; [unrolled: 1-line block ×3, first 2 shown]
	v_dual_cndmask_b32 v57, -v57, v57, s1 :: v_dual_cndmask_b32 v60, -v40, v40, s17
	v_dual_cndmask_b32 v61, -v41, v41, s17 :: v_dual_cndmask_b32 v56, -v56, v56, s1
	s_wait_dscnt 0x8
	v_pk_add_f32 v[38:39], v[38:39], v[50:51]
	v_dual_cndmask_b32 v43, -v43, v43, s17 :: v_dual_cndmask_b32 v42, -v42, v42, s17
	s_wait_dscnt 0x6
	v_pk_add_f32 v[40:41], v[48:49], v[58:59]
	ds_load_b128 v[48:51], v66 offset:20480
	ds_bpermute_b32 v62, v1, v54
	ds_bpermute_b32 v63, v1, v55
	s_wait_dscnt 0x7
	v_pk_add_f32 v[56:57], v[56:57], v[64:65]
	v_dual_cndmask_b32 v55, -v55, v55, s1 :: v_dual_cndmask_b32 v54, -v54, v54, s1
	v_dual_cndmask_b32 v109, -v18, v18, s17 :: v_dual_add_f32 v25, v25, v103
	v_add_f32_e32 v26, v26, v104
	s_wait_dscnt 0x6
	ds_bpermute_b32 v64, v74, v44
	ds_bpermute_b32 v65, v74, v45
	s_wait_dscnt 0x7
	v_pk_add_f32 v[58:59], v[60:61], v[68:69]
	s_wait_dscnt 0x5
	v_pk_add_f32 v[42:43], v[42:43], v[52:53]
	ds_bpermute_b32 v52, v74, v46
	ds_bpermute_b32 v53, v74, v47
	v_dual_cndmask_b32 v45, -v45, v45, s17 :: v_dual_cndmask_b32 v44, -v44, v44, s17
	ds_bpermute_b32 v60, v1, v58
	ds_bpermute_b32 v61, v1, v59
	;; [unrolled: 1-line block ×3, first 2 shown]
	s_wait_dscnt 0x9
	ds_bpermute_b32 v76, v74, v48
	ds_bpermute_b32 v77, v74, v49
	;; [unrolled: 1-line block ×5, first 2 shown]
	v_dual_cndmask_b32 v47, -v47, v47, s17 :: v_dual_cndmask_b32 v46, -v46, v46, s17
	v_dual_cndmask_b32 v43, -v43, v43, s1 :: v_dual_cndmask_b32 v49, -v49, v49, s17
	;; [unrolled: 1-line block ×3, first 2 shown]
	s_wait_dscnt 0xa
	v_pk_add_f32 v[44:45], v[44:45], v[64:65]
	v_cndmask_b32_e64 v50, -v50, v50, s17
	v_pk_add_f32 v[54:55], v[54:55], v[62:63]
	v_dual_cndmask_b32 v59, -v59, v59, s1 :: v_dual_cndmask_b32 v58, -v58, v58, s1
	s_wait_dscnt 0x8
	v_pk_add_f32 v[46:47], v[46:47], v[52:53]
	ds_bpermute_b32 v52, v1, v44
	ds_bpermute_b32 v53, v1, v45
	v_cndmask_b32_e64 v45, -v45, v45, s1
	ds_bpermute_b32 v62, v75, v54
	s_wait_dscnt 0x6
	v_pk_add_f32 v[48:49], v[48:49], v[76:77]
	ds_bpermute_b32 v63, v75, v55
	s_wait_dscnt 0x5
	v_pk_add_f32 v[50:51], v[50:51], v[78:79]
	v_pk_add_f32 v[64:65], v[58:59], v[60:61]
	ds_bpermute_b32 v58, v1, v46
	ds_bpermute_b32 v59, v1, v47
	;; [unrolled: 1-line block ×6, first 2 shown]
	v_dual_cndmask_b32 v42, -v42, v42, s1 :: v_dual_cndmask_b32 v44, -v44, v44, s1
	v_dual_cndmask_b32 v55, -v55, v55, s16 :: v_dual_cndmask_b32 v54, -v54, v54, s16
	v_dual_cndmask_b32 v47, -v47, v47, s1 :: v_dual_cndmask_b32 v46, -v46, v46, s1
	s_wait_dscnt 0xa
	s_delay_alu instid0(VALU_DEP_3)
	v_pk_add_f32 v[42:43], v[42:43], v[72:73]
	s_wait_dscnt 0x8
	v_pk_add_f32 v[52:53], v[44:45], v[52:53]
	v_dual_cndmask_b32 v45, -v49, v49, s1 :: v_dual_cndmask_b32 v44, -v48, v48, s1
	v_cndmask_b32_e64 v49, -v51, v51, s1
	ds_bpermute_b32 v79, v75, v43
	v_dual_cndmask_b32 v43, -v43, v43, s16 :: v_dual_cndmask_b32 v48, -v50, v50, s1
	ds_bpermute_b32 v68, v75, v56
	ds_bpermute_b32 v69, v75, v57
	s_wait_dscnt 0x7
	v_pk_add_f32 v[50:51], v[46:47], v[58:59]
	s_wait_dscnt 0x5
	v_pk_add_f32 v[82:83], v[44:45], v[60:61]
	v_pk_add_f32 v[46:47], v[54:55], v[62:63]
	v_cndmask_b32_e64 v55, -v65, v65, s16
	s_wait_dscnt 0x3
	v_pk_add_f32 v[76:77], v[48:49], v[76:77]
	ds_bpermute_b32 v72, v75, v64
	ds_bpermute_b32 v73, v75, v65
	ds_bpermute_b32 v78, v75, v42
	v_dual_cndmask_b32 v42, -v42, v42, s16 :: v_dual_cndmask_b32 v54, -v64, v64, s16
	ds_bpermute_b32 v80, v75, v52
	ds_bpermute_b32 v84, v75, v50
	;; [unrolled: 1-line block ×8, first 2 shown]
	ds_load_b128 v[58:61], v66 offset:24576
	ds_load_b128 v[62:65], v66 offset:28672
	v_dual_cndmask_b32 v57, -v57, v57, s16 :: v_dual_cndmask_b32 v56, -v56, v56, s16
	v_dual_cndmask_b32 v51, -v51, v51, s16 :: v_dual_cndmask_b32 v50, -v50, v50, s16
	v_dual_cndmask_b32 v53, -v53, v53, s16 :: v_dual_cndmask_b32 v52, -v52, v52, s16
	s_wait_dscnt 0xd
	s_delay_alu instid0(VALU_DEP_3)
	v_pk_add_f32 v[48:49], v[56:57], v[68:69]
	v_dual_cndmask_b32 v69, -v77, v77, s16 :: v_dual_cndmask_b32 v68, -v76, v76, s16
	v_dual_cndmask_b32 v77, -v83, v83, s16 :: v_dual_cndmask_b32 v76, -v82, v82, s16
	s_wait_dscnt 0xa
	v_pk_add_f32 v[44:45], v[42:43], v[78:79]
	v_pk_add_f32 v[42:43], v[54:55], v[72:73]
	s_wait_dscnt 0x7
	v_pk_add_f32 v[56:57], v[50:51], v[84:85]
	s_wait_dscnt 0x6
	v_pk_add_f32 v[54:55], v[52:53], v[80:81]
	ds_bpermute_b32 v82, v74, v10
	s_wait_dscnt 0x4
	v_pk_add_f32 v[52:53], v[68:69], v[88:89]
	s_wait_dscnt 0x3
	v_pk_add_f32 v[50:51], v[76:77], v[86:87]
	s_wait_dscnt 0x2
	ds_bpermute_b32 v68, v74, v58
	ds_bpermute_b32 v72, v74, v60
	;; [unrolled: 1-line block ×3, first 2 shown]
	v_dual_cndmask_b32 v77, -v59, v59, s17 :: v_dual_cndmask_b32 v76, -v58, v58, s17
	v_dual_cndmask_b32 v79, -v61, v61, s17 :: v_dual_cndmask_b32 v78, -v60, v60, s17
	s_wait_dscnt 0x4
	ds_bpermute_b32 v58, v74, v64
	v_dual_cndmask_b32 v61, -v65, v65, s17 :: v_dual_cndmask_b32 v60, -v64, v64, s17
	ds_bpermute_b32 v64, v74, v14
	ds_bpermute_b32 v69, v74, v59
	;; [unrolled: 1-line block ×4, first 2 shown]
	v_dual_cndmask_b32 v14, -v14, v14, s17 :: v_dual_cndmask_b32 v15, -v15, v15, s17
	ds_bpermute_b32 v83, v74, v11
	ds_bpermute_b32 v84, v74, v12
	v_dual_cndmask_b32 v10, -v10, v10, s17 :: v_dual_cndmask_b32 v11, -v11, v11, s17
	v_cndmask_b32_e64 v12, -v12, v12, s17
	ds_bpermute_b32 v85, v74, v13
	ds_bpermute_b32 v86, v74, v6
	v_dual_cndmask_b32 v13, -v13, v13, s17 :: v_dual_cndmask_b32 v110, -v19, v19, s17
	s_wait_dscnt 0xc
	v_dual_add_f32 v10, v10, v82 :: v_dual_cndmask_b32 v111, -v20, v20, s17
	ds_bpermute_b32 v87, v74, v7
	v_dual_cndmask_b32 v6, -v6, v6, s17 :: v_dual_cndmask_b32 v7, -v7, v7, s17
	s_wait_dscnt 0x8
	v_add_f32_e32 v2, v14, v64
	ds_bpermute_b32 v88, v74, v8
	v_cndmask_b32_e64 v82, -v21, v21, s17
	s_wait_dscnt 0x6
	v_dual_add_f32 v3, v15, v65 :: v_dual_add_f32 v14, v16, v67
	ds_bpermute_b32 v4, v1, v2
	v_dual_cndmask_b32 v2, -v2, v2, s1 :: v_dual_add_f32 v15, v17, v71
	ds_bpermute_b32 v5, v1, v3
	ds_bpermute_b32 v16, v1, v14
	v_cndmask_b32_e64 v3, -v3, v3, s1
	s_wait_dscnt 0x7
	v_dual_add_f32 v11, v11, v83 :: v_dual_add_f32 v12, v12, v84
	ds_bpermute_b32 v67, v74, v18
	ds_bpermute_b32 v71, v74, v19
	;; [unrolled: 1-line block ×5, first 2 shown]
	s_wait_dscnt 0xb
	v_dual_add_f32 v13, v13, v85 :: v_dual_cndmask_b32 v12, -v12, v12, s1
	s_wait_dscnt 0xa
	v_add_f32_e32 v6, v6, v86
	ds_bpermute_b32 v89, v74, v9
	v_dual_cndmask_b32 v10, -v10, v10, s1 :: v_dual_cndmask_b32 v11, -v11, v11, s1
	s_wait_dscnt 0x8
	v_dual_add_f32 v7, v7, v87 :: v_dual_add_f32 v2, v2, v4
	ds_bpermute_b32 v4, v1, v15
	v_dual_cndmask_b32 v14, -v14, v14, s1 :: v_dual_cndmask_b32 v15, -v15, v15, s1
	s_wait_dscnt 0x8
	v_add_f32_e32 v3, v3, v5
	ds_bpermute_b32 v5, v75, v2
	v_cndmask_b32_e64 v2, -v2, v2, s16
	s_wait_dscnt 0x8
	v_add_f32_e32 v14, v14, v16
	ds_bpermute_b32 v16, v1, v13
	ds_bpermute_b32 v17, v75, v3
	s_wait_dscnt 0x7
	v_dual_cndmask_b32 v3, -v3, v3, s16 :: v_dual_add_f32 v10, v10, v18
	s_wait_dscnt 0x5
	v_dual_add_f32 v12, v12, v20 :: v_dual_add_f32 v11, v11, v19
	ds_bpermute_b32 v80, v74, v62
	ds_bpermute_b32 v81, v74, v63
	v_dual_cndmask_b32 v8, -v8, v8, s17 :: v_dual_cndmask_b32 v9, -v9, v9, s17
	ds_bpermute_b32 v64, v74, v23
	ds_bpermute_b32 v65, v74, v24
	;; [unrolled: 1-line block ×3, first 2 shown]
	s_wait_dscnt 0x8
	v_add_f32_e32 v4, v15, v4
	ds_bpermute_b32 v15, v75, v14
	v_cndmask_b32_e64 v14, -v14, v14, s16
	ds_bpermute_b32 v19, v75, v10
	s_wait_dscnt 0x9
	v_add_f32_e32 v2, v2, v5
	ds_bpermute_b32 v5, v75, v4
	v_cndmask_b32_e64 v18, -v4, v4, s16
	ds_bpermute_b32 v20, v75, v11
	s_wait_dscnt 0x9
	v_add_f32_e32 v3, v3, v17
	ds_bpermute_b32 v17, v1, v6
	ds_bpermute_b32 v21, v75, v12
	v_dual_cndmask_b32 v13, -v13, v13, s1 :: v_dual_cndmask_b32 v6, -v6, v6, s1
	v_dual_add_f32 v9, v9, v89 :: v_dual_cndmask_b32 v10, -v10, v10, s16
	v_dual_cndmask_b32 v12, -v12, v12, s16 :: v_dual_cndmask_b32 v83, -v7, v7, s1
	v_dual_add_f32 v30, v30, v98 :: v_dual_add_f32 v31, v31, v99
	v_dual_cndmask_b32 v23, -v23, v23, s17 :: v_dual_cndmask_b32 v24, -v24, v24, s17
	s_wait_dscnt 0x5
	v_add_f32_e32 v4, v14, v15
	ds_bpermute_b32 v14, v1, v7
	v_dual_add_f32 v15, v8, v88 :: v_dual_cndmask_b32 v8, -v11, v11, s16
	s_wait_dscnt 0x4
	v_dual_add_f32 v5, v18, v5 :: v_dual_add_f32 v11, v13, v16
	ds_bpermute_b32 v86, v1, v30
	ds_bpermute_b32 v16, v1, v15
	s_wait_dscnt 0x4
	v_add_f32_e32 v13, v6, v17
	ds_bpermute_b32 v17, v1, v9
	ds_bpermute_b32 v18, v75, v11
	v_dual_add_f32 v6, v10, v19 :: v_dual_add_f32 v7, v8, v20
	ds_bpermute_b32 v84, v75, v13
	s_wait_dscnt 0x6
	v_dual_add_f32 v8, v12, v21 :: v_dual_cndmask_b32 v10, -v11, v11, s16
	v_dual_cndmask_b32 v12, -v13, v13, s16 :: v_dual_add_f32 v13, v91, v90
	v_cndmask_b32_e64 v9, -v9, v9, s1
	ds_bpermute_b32 v87, v1, v31
	v_cndmask_b32_e64 v30, -v30, v30, s1
	s_wait_dscnt 0x6
	v_add_f32_e32 v11, v83, v14
	v_dual_cndmask_b32 v14, -v15, v15, s1 :: v_dual_add_f32 v15, v93, v92
	v_add_f32_e32 v19, v95, v94
	ds_bpermute_b32 v20, v1, v13
	ds_bpermute_b32 v21, v75, v11
	s_wait_dscnt 0x6
	v_add_f32_e32 v14, v14, v16
	ds_bpermute_b32 v83, v1, v15
	ds_bpermute_b32 v16, v1, v19
	s_wait_dscnt 0x6
	v_dual_add_f32 v17, v9, v17 :: v_dual_add_f32 v9, v10, v18
	s_wait_dscnt 0x5
	v_dual_cndmask_b32 v11, -v11, v11, s16 :: v_dual_add_f32 v10, v12, v84
	v_add_f32_e32 v84, v97, v96
	ds_bpermute_b32 v12, v75, v14
	ds_bpermute_b32 v18, v75, v17
	v_dual_cndmask_b32 v13, -v13, v13, s1 :: v_dual_cndmask_b32 v15, -v15, v15, s1
	ds_bpermute_b32 v85, v1, v84
	v_dual_cndmask_b32 v19, -v19, v19, s1 :: v_dual_cndmask_b32 v17, -v17, v17, s16
	v_dual_cndmask_b32 v31, -v31, v31, s1 :: v_dual_add_f32 v22, v22, v102
	v_add_f32_e32 v23, v23, v64
	s_wait_dscnt 0x5
	v_dual_add_f32 v20, v13, v20 :: v_dual_add_f32 v11, v11, v21
	s_wait_dscnt 0x4
	v_dual_cndmask_b32 v13, -v14, v14, s16 :: v_dual_add_f32 v15, v15, v83
	s_wait_dscnt 0x3
	v_add_f32_e32 v14, v19, v16
	ds_bpermute_b32 v16, v75, v20
	v_add_f32_e32 v19, v32, v100
	v_cndmask_b32_e64 v83, -v84, v84, s1
	ds_bpermute_b32 v21, v75, v15
	ds_bpermute_b32 v32, v75, v14
	s_wait_dscnt 0x5
	v_add_f32_e32 v12, v13, v12
	ds_bpermute_b32 v84, v1, v19
	s_wait_dscnt 0x5
	v_dual_add_f32 v13, v17, v18 :: v_dual_cndmask_b32 v20, -v20, v20, s16
	s_wait_dscnt 0x4
	v_dual_add_f32 v17, v83, v85 :: v_dual_add_f32 v18, v30, v86
	v_add_f32_e32 v30, v31, v87
	v_dual_cndmask_b32 v15, -v15, v15, s16 :: v_dual_cndmask_b32 v85, -v14, v14, s16
	ds_bpermute_b32 v31, v75, v17
	v_cndmask_b32_e64 v19, -v19, v19, s1
	ds_bpermute_b32 v83, v75, v18
	v_dual_cndmask_b32 v17, -v17, v17, s16 :: v_dual_cndmask_b32 v18, -v18, v18, s16
	ds_bpermute_b32 v86, v75, v30
	s_wait_dscnt 0x6
	v_dual_add_f32 v14, v20, v16 :: v_dual_add_f32 v20, v33, v101
	ds_bpermute_b32 v64, v1, v22
	s_wait_dscnt 0x5
	v_dual_add_f32 v15, v15, v21 :: v_dual_add_f32 v16, v85, v32
	s_wait_dscnt 0x4
	v_dual_add_f32 v24, v24, v65 :: v_dual_add_f32 v21, v19, v84
	ds_bpermute_b32 v32, v1, v20
	v_cndmask_b32_e64 v19, -v30, v30, s16
	ds_bpermute_b32 v30, v1, v23
	v_dual_cndmask_b32 v20, -v20, v20, s1 :: v_dual_add_f32 v27, v27, v105
	ds_bpermute_b32 v33, v75, v21
	v_cndmask_b32_e64 v21, -v21, v21, s16
	s_wait_dscnt 0x6
	v_add_f32_e32 v17, v17, v31
	ds_bpermute_b32 v31, v1, v24
	s_wait_dscnt 0x6
	v_add_f32_e32 v18, v18, v83
	v_dual_cndmask_b32 v22, -v22, v22, s1 :: v_dual_cndmask_b32 v23, -v23, v23, s1
	ds_bpermute_b32 v65, v1, v25
	ds_bpermute_b32 v83, v1, v26
	;; [unrolled: 1-line block ×3, first 2 shown]
	v_dual_cndmask_b32 v27, -v27, v27, s1 :: v_dual_add_f32 v28, v28, v106
	s_wait_dscnt 0x8
	v_add_f32_e32 v19, v19, v86
	v_dual_cndmask_b32 v63, -v63, v63, s17 :: v_dual_cndmask_b32 v62, -v62, v62, s17
	s_wait_dscnt 0x6
	v_add_f32_e32 v32, v20, v32
	v_pk_add_f32 v[58:59], v[60:61], v[58:59]
	s_wait_dscnt 0x0
	s_barrier_signal -1
	v_pk_add_f32 v[62:63], v[62:63], v[80:81]
	v_dual_add_f32 v20, v21, v33 :: v_dual_add_f32 v21, v22, v64
	v_dual_add_f32 v23, v23, v30 :: v_dual_cndmask_b32 v22, -v24, v24, s1
	ds_bpermute_b32 v24, v75, v32
	v_cndmask_b32_e64 v30, -v32, v32, s16
	ds_bpermute_b32 v32, v75, v21
	ds_bpermute_b32 v33, v75, v23
	v_dual_add_f32 v22, v22, v31 :: v_dual_cndmask_b32 v31, -v21, v21, s16
	v_dual_cndmask_b32 v21, -v25, v25, s1 :: v_dual_cndmask_b32 v25, -v26, v26, s1
	v_add_f32_e32 v29, v29, v107
	ds_bpermute_b32 v26, v75, v22
	v_dual_add_f32 v27, v27, v84 :: v_dual_add_f32 v64, v21, v65
	ds_bpermute_b32 v65, v1, v28
	v_add_f32_e32 v25, v25, v83
	ds_bpermute_b32 v60, v1, v62
	ds_bpermute_b32 v86, v75, v27
	ds_bpermute_b32 v83, v75, v64
	ds_bpermute_b32 v61, v1, v63
	s_barrier_wait -1
	s_wait_dscnt 0x0
	v_dual_add_f32 v21, v30, v24 :: v_dual_add_f32 v30, v109, v67
	v_cndmask_b32_e64 v24, -v22, v22, s16
	ds_bpermute_b32 v85, v1, v29
	v_cndmask_b32_e64 v23, -v23, v23, s16
	ds_bpermute_b32 v84, v75, v25
	v_dual_add_f32 v22, v31, v32 :: v_dual_add_f32 v31, v110, v71
	ds_bpermute_b32 v32, v1, v30
	v_dual_add_f32 v24, v24, v26 :: v_dual_add_f32 v23, v23, v33
	v_dual_cndmask_b32 v28, -v28, v28, s1 :: v_dual_cndmask_b32 v29, -v29, v29, s1
	ds_bpermute_b32 v33, v1, v31
	v_dual_cndmask_b32 v27, -v27, v27, s16 :: v_dual_cndmask_b32 v26, -v64, v64, s16
	v_cndmask_b32_e64 v64, -v25, v25, s16
	s_delay_alu instid0(VALU_DEP_2) | instskip(NEXT) | instid1(VALU_DEP_3)
	v_dual_add_f32 v28, v28, v65 :: v_dual_add_f32 v27, v27, v86
	v_add_f32_e32 v25, v26, v83
	ds_bpermute_b32 v67, v75, v28
	s_wait_dscnt 0x4
	v_dual_add_f32 v29, v29, v85 :: v_dual_cndmask_b32 v71, -v28, v28, s16
	s_wait_dscnt 0x3
	v_dual_cndmask_b32 v28, -v30, v30, s1 :: v_dual_add_f32 v26, v64, v84
	s_delay_alu instid0(VALU_DEP_2)
	v_dual_add_f32 v85, v111, v108 :: v_dual_cndmask_b32 v84, -v29, v29, s16
	ds_bpermute_b32 v83, v75, v29
	s_wait_dscnt 0x3
	v_dual_cndmask_b32 v64, -v31, v31, s1 :: v_dual_add_f32 v86, v28, v32
	v_pk_add_f32 v[28:29], v[76:77], v[68:69]
	v_pk_add_f32 v[30:31], v[78:79], v[72:73]
	ds_bpermute_b32 v72, v1, v85
	s_wait_dscnt 0x3
	v_dual_add_f32 v73, v64, v33 :: v_dual_cndmask_b32 v79, -v86, v86, s16
	ds_bpermute_b32 v32, v1, v28
	ds_bpermute_b32 v33, v1, v29
	;; [unrolled: 1-line block ×4, first 2 shown]
	v_dual_add_f32 v74, v82, v74 :: v_dual_cndmask_b32 v76, -v85, v85, s1
	ds_bpermute_b32 v68, v1, v58
	ds_bpermute_b32 v69, v1, v59
	v_dual_cndmask_b32 v29, -v29, v29, s1 :: v_dual_cndmask_b32 v28, -v28, v28, s1
	ds_bpermute_b32 v77, v1, v74
	v_dual_cndmask_b32 v31, -v31, v31, s1 :: v_dual_cndmask_b32 v30, -v30, v30, s1
	v_cndmask_b32_e64 v81, -v73, v73, s16
	ds_bpermute_b32 v80, v75, v73
	ds_bpermute_b32 v78, v75, v86
	s_wait_dscnt 0x9
	v_add_f32_e32 v1, v76, v72
	s_wait_dscnt 0x7
	v_pk_add_f32 v[72:73], v[28:29], v[32:33]
	v_dual_cndmask_b32 v29, -v63, v63, s1 :: v_dual_cndmask_b32 v28, -v62, v62, s1
	s_wait_dscnt 0x5
	v_pk_add_f32 v[64:65], v[30:31], v[64:65]
	v_dual_cndmask_b32 v33, -v74, v74, s1 :: v_dual_cndmask_b32 v31, -v59, v59, s1
	v_cndmask_b32_e64 v30, -v58, v58, s1
	ds_bpermute_b32 v32, v75, v1
	v_pk_add_f32 v[60:61], v[28:29], v[60:61]
	s_wait_dscnt 0x3
	v_add_f32_e32 v33, v33, v77
	ds_bpermute_b32 v58, v75, v72
	v_pk_add_f32 v[62:63], v[30:31], v[68:69]
	ds_bpermute_b32 v59, v75, v73
	ds_bpermute_b32 v68, v75, v64
	;; [unrolled: 1-line block ×8, first 2 shown]
	v_dual_cndmask_b32 v1, -v1, v1, s16 :: v_dual_add_f32 v28, v71, v67
	s_wait_dscnt 0xa
	v_dual_add_f32 v29, v84, v83 :: v_dual_add_f32 v30, v79, v78
	v_dual_add_f32 v31, v81, v80 :: v_dual_cndmask_b32 v63, -v63, v63, s16
	v_dual_cndmask_b32 v73, -v73, v73, s16 :: v_dual_cndmask_b32 v72, -v72, v72, s16
	s_wait_dscnt 0x9
	v_dual_add_f32 v32, v1, v32 :: v_dual_cndmask_b32 v62, -v62, v62, s16
	v_dual_cndmask_b32 v65, -v65, v65, s16 :: v_dual_cndmask_b32 v64, -v64, v64, s16
	v_dual_cndmask_b32 v1, -v33, v33, s16 :: v_dual_cndmask_b32 v78, -v60, v60, s16
	v_cndmask_b32_e64 v79, -v61, v61, s16
	s_wait_dscnt 0x7
	v_pk_add_f32 v[58:59], v[72:73], v[58:59]
	s_wait_dscnt 0x5
	v_pk_add_f32 v[60:61], v[64:65], v[68:69]
	s_wait_dscnt 0x4
	v_add_f32_e32 v33, v1, v82
	s_wait_dscnt 0x1
	v_pk_add_f32 v[64:65], v[62:63], v[76:77]
	s_wait_dscnt 0x0
	v_pk_add_f32 v[62:63], v[78:79], v[74:75]
	ds_store_b128 v66, v[2:5]
	ds_store_b128 v66, v[6:9] offset:4096
	ds_store_b128 v66, v[10:13] offset:8192
	;; [unrolled: 1-line block ×7, first 2 shown]
	s_wait_dscnt 0x0
	s_barrier_signal -1
	s_barrier_wait -1
	ds_load_b128 v[2:5], v70
	ds_load_b128 v[6:9], v70 offset:4096
	ds_load_b128 v[10:13], v70 offset:8192
	;; [unrolled: 1-line block ×7, first 2 shown]
	s_wait_dscnt 0x0
	s_barrier_signal -1
	s_barrier_wait -1
	ds_store_b128 v66, v[34:37]
	ds_store_b128 v66, v[38:41] offset:4096
	ds_store_b128 v66, v[46:49] offset:8192
	;; [unrolled: 1-line block ×7, first 2 shown]
	s_wait_dscnt 0x0
	s_barrier_signal -1
	s_barrier_wait -1
	ds_load_b128 v[34:37], v70
	ds_load_b128 v[38:41], v70 offset:4096
	ds_load_b128 v[42:45], v70 offset:8192
	;; [unrolled: 1-line block ×7, first 2 shown]
	s_mul_u64 s[16:17], s[26:27], s[28:29]
	s_delay_alu instid0(SALU_CYCLE_1)
	s_lshl_b64 s[16:17], s[16:17], 2
	v_pk_add_f32 v[90:91], v[2:3], v[6:7]
	v_pk_add_f32 v[106:107], v[4:5], v[8:9]
	;; [unrolled: 1-line block ×10, first 2 shown]
	s_wait_dscnt 0x6
	v_pk_add_f32 v[98:99], v[34:35], v[38:39]
	v_pk_add_f32 v[114:115], v[36:37], v[40:41]
	s_wait_dscnt 0x4
	v_pk_add_f32 v[100:101], v[42:43], v[46:47]
	v_pk_add_f32 v[116:117], v[44:45], v[48:49]
	s_wait_dscnt 0x2
	v_pk_add_f32 v[102:103], v[50:51], v[54:55]
	v_pk_add_f32 v[118:119], v[52:53], v[56:57]
	s_wait_dscnt 0x0
	v_pk_add_f32 v[104:105], v[58:59], v[62:63]
	v_pk_add_f32 v[120:121], v[60:61], v[64:65]
	v_pk_add_f32 v[76:77], v[94:95], v[96:97]
	v_pk_add_f32 v[78:79], v[98:99], v[100:101]
	;; [unrolled: 1-line block ×9, first 2 shown]
	s_add_nc_u64 s[16:17], s[22:23], s[16:17]
	v_pk_add_f32 v[70:71], v[86:87], v[88:89]
	s_and_saveexec_b32 s1, s7
	s_cbranch_execz .LBB11_34
; %bb.33:
	v_mov_b64_e32 v[124:125], s[20:21]
	v_pk_add_f32 v[122:123], v[72:73], v[68:69]
	v_pk_add_f32 v[126:127], v[70:71], v[66:67]
	s_delay_alu instid0(VALU_DEP_2) | instskip(NEXT) | instid1(VALU_DEP_2)
	v_pk_mul_f32 v[122:123], v[124:125], v[122:123]
	v_pk_mul_f32 v[124:125], v[124:125], v[126:127]
	global_store_b128 v0, v[122:125], s[16:17] scale_offset
.LBB11_34:
	s_wait_xcnt 0x0
	s_or_b32 exec_lo, exec_lo, s1
	v_pk_add_f32 v[122:123], v[2:3], v[6:7] neg_lo:[0,1] neg_hi:[0,1]
	v_pk_add_f32 v[124:125], v[10:11], v[14:15] neg_lo:[0,1] neg_hi:[0,1]
	;; [unrolled: 1-line block ×16, first 2 shown]
	v_pk_add_f32 v[32:33], v[122:123], v[124:125]
	v_pk_add_f32 v[34:35], v[18:19], v[22:23]
	;; [unrolled: 1-line block ×11, first 2 shown]
	s_delay_alu instid0(VALU_DEP_4)
	v_pk_add_f32 v[4:5], v[44:45], v[46:47]
	s_and_saveexec_b32 s1, s3
	s_cbranch_execz .LBB11_36
; %bb.35:
	v_mov_b64_e32 v[10:11], s[20:21]
	v_pk_add_f32 v[8:9], v[6:7], v[2:3]
	v_pk_add_f32 v[12:13], v[4:5], v[0:1]
	s_delay_alu instid0(VALU_DEP_2) | instskip(NEXT) | instid1(VALU_DEP_2)
	v_pk_mul_f32 v[8:9], v[10:11], v[8:9]
	v_pk_mul_f32 v[10:11], v[10:11], v[12:13]
	global_store_b128 v140, v[8:11], s[16:17] scale_offset
.LBB11_36:
	s_wait_xcnt 0x0
	s_or_b32 exec_lo, exec_lo, s1
	v_pk_add_f32 v[48:49], v[90:91], v[92:93] neg_lo:[0,1] neg_hi:[0,1]
	v_pk_add_f32 v[50:51], v[94:95], v[96:97] neg_lo:[0,1] neg_hi:[0,1]
	;; [unrolled: 1-line block ×8, first 2 shown]
	v_pk_add_f32 v[10:11], v[48:49], v[50:51]
	v_pk_add_f32 v[14:15], v[52:53], v[54:55]
	v_pk_add_f32 v[8:9], v[56:57], v[58:59]
	s_delay_alu instid0(VALU_DEP_4)
	v_pk_add_f32 v[12:13], v[60:61], v[62:63]
	s_and_saveexec_b32 s1, s2
	s_cbranch_execz .LBB11_38
; %bb.37:
	v_mov_b64_e32 v[92:93], s[20:21]
	v_pk_add_f32 v[64:65], v[14:15], v[10:11]
	v_pk_add_f32 v[94:95], v[12:13], v[8:9]
	s_delay_alu instid0(VALU_DEP_2) | instskip(NEXT) | instid1(VALU_DEP_2)
	v_pk_mul_f32 v[90:91], v[92:93], v[64:65]
	v_pk_mul_f32 v[92:93], v[92:93], v[94:95]
	global_store_b128 v139, v[90:93], s[16:17] scale_offset
.LBB11_38:
	s_wait_xcnt 0x0
	s_or_b32 exec_lo, exec_lo, s1
	v_pk_add_f32 v[64:65], v[122:123], v[124:125] neg_lo:[0,1] neg_hi:[0,1]
	v_pk_add_f32 v[90:91], v[18:19], v[22:23] neg_lo:[0,1] neg_hi:[0,1]
	;; [unrolled: 1-line block ×8, first 2 shown]
	v_pk_add_f32 v[18:19], v[64:65], v[90:91]
	v_pk_add_f32 v[16:17], v[92:93], v[94:95]
	;; [unrolled: 1-line block ×3, first 2 shown]
	s_delay_alu instid0(VALU_DEP_4)
	v_pk_add_f32 v[20:21], v[98:99], v[102:103]
	s_and_saveexec_b32 s1, vcc_lo
	s_cbranch_execz .LBB11_40
; %bb.39:
	v_mov_b64_e32 v[26:27], s[20:21]
	v_pk_add_f32 v[24:25], v[22:23], v[18:19]
	v_pk_add_f32 v[28:29], v[20:21], v[16:17]
	s_delay_alu instid0(VALU_DEP_2) | instskip(NEXT) | instid1(VALU_DEP_2)
	v_pk_mul_f32 v[24:25], v[26:27], v[24:25]
	v_pk_mul_f32 v[26:27], v[26:27], v[28:29]
	global_store_b128 v138, v[24:27], s[16:17] scale_offset
.LBB11_40:
	s_wait_xcnt 0x0
	s_or_b32 exec_lo, exec_lo, s1
	v_pk_add_f32 v[26:27], v[74:75], v[76:77] neg_lo:[0,1] neg_hi:[0,1]
	v_pk_add_f32 v[30:31], v[78:79], v[80:81] neg_lo:[0,1] neg_hi:[0,1]
	v_pk_add_f32 v[24:25], v[82:83], v[84:85] neg_lo:[0,1] neg_hi:[0,1]
	v_pk_add_f32 v[28:29], v[86:87], v[88:89] neg_lo:[0,1] neg_hi:[0,1]
	s_and_saveexec_b32 s1, s4
	s_cbranch_execz .LBB11_42
; %bb.41:
	v_mov_b64_e32 v[76:77], s[20:21]
	v_pk_add_f32 v[74:75], v[26:27], v[30:31]
	v_pk_add_f32 v[78:79], v[24:25], v[28:29]
	s_delay_alu instid0(VALU_DEP_2) | instskip(NEXT) | instid1(VALU_DEP_2)
	v_pk_mul_f32 v[74:75], v[76:77], v[74:75]
	v_pk_mul_f32 v[76:77], v[76:77], v[78:79]
	global_store_b128 v141, v[74:77], s[16:17] scale_offset
.LBB11_42:
	s_wait_xcnt 0x0
	s_or_b32 exec_lo, exec_lo, s1
	v_pk_add_f32 v[34:35], v[32:33], v[34:35] neg_lo:[0,1] neg_hi:[0,1]
	v_pk_add_f32 v[38:39], v[36:37], v[38:39] neg_lo:[0,1] neg_hi:[0,1]
	v_pk_add_f32 v[32:33], v[40:41], v[42:43] neg_lo:[0,1] neg_hi:[0,1]
	v_pk_add_f32 v[36:37], v[44:45], v[46:47] neg_lo:[0,1] neg_hi:[0,1]
	s_and_saveexec_b32 s1, s5
	;; [unrolled: 17-line block ×4, first 2 shown]
	s_cbranch_execnz .LBB11_56
; %bb.47:
	s_or_b32 exec_lo, exec_lo, s1
	s_and_saveexec_b32 s1, s9
	s_cbranch_execnz .LBB11_57
.LBB11_48:
	s_or_b32 exec_lo, exec_lo, s1
	s_and_saveexec_b32 s1, s10
	s_cbranch_execnz .LBB11_58
.LBB11_49:
	s_or_b32 exec_lo, exec_lo, s1
	s_and_saveexec_b32 s1, s11
	s_cbranch_execnz .LBB11_59
.LBB11_50:
	s_or_b32 exec_lo, exec_lo, s1
	s_and_saveexec_b32 s1, s12
	s_cbranch_execnz .LBB11_60
.LBB11_51:
	s_or_b32 exec_lo, exec_lo, s1
	s_and_saveexec_b32 s1, s13
	s_cbranch_execnz .LBB11_61
.LBB11_52:
	s_or_b32 exec_lo, exec_lo, s1
	s_and_saveexec_b32 s1, s14
	s_cbranch_execnz .LBB11_62
.LBB11_53:
	s_or_b32 exec_lo, exec_lo, s1
	s_and_saveexec_b32 s1, s15
	s_cbranch_execnz .LBB11_63
.LBB11_54:
	s_or_b32 exec_lo, exec_lo, s1
	s_and_saveexec_b32 s1, s0
	s_cbranch_execnz .LBB11_64
.LBB11_55:
	s_sendmsg sendmsg(MSG_DEALLOC_VGPRS)
	s_endpgm
.LBB11_56:
	v_mov_b64_e32 v[58:59], s[20:21]
	v_pk_add_f32 v[56:57], v[50:51], v[54:55]
	v_pk_add_f32 v[60:61], v[48:49], v[52:53]
	s_delay_alu instid0(VALU_DEP_2) | instskip(NEXT) | instid1(VALU_DEP_2)
	v_pk_mul_f32 v[56:57], v[58:59], v[56:57]
	v_pk_mul_f32 v[58:59], v[58:59], v[60:61]
	global_store_b128 v144, v[56:59], s[16:17] scale_offset
	s_wait_xcnt 0x0
	s_or_b32 exec_lo, exec_lo, s1
	s_and_saveexec_b32 s1, s9
	s_cbranch_execz .LBB11_48
.LBB11_57:
	v_mov_b64_e32 v[58:59], s[20:21]
	v_pk_add_f32 v[56:57], v[68:69], v[72:73] neg_lo:[0,1] neg_hi:[0,1]
	v_pk_add_f32 v[60:61], v[66:67], v[70:71] neg_lo:[0,1] neg_hi:[0,1]
	s_delay_alu instid0(VALU_DEP_2) | instskip(NEXT) | instid1(VALU_DEP_2)
	v_pk_mul_f32 v[56:57], v[58:59], v[56:57]
	v_pk_mul_f32 v[58:59], v[58:59], v[60:61]
	global_store_b128 v145, v[56:59], s[16:17] scale_offset
	s_wait_xcnt 0x0
	s_or_b32 exec_lo, exec_lo, s1
	s_and_saveexec_b32 s1, s10
	s_cbranch_execz .LBB11_49
.LBB11_58:
	v_pk_add_f32 v[2:3], v[2:3], v[6:7] neg_lo:[0,1] neg_hi:[0,1]
	v_mov_b64_e32 v[6:7], s[20:21]
	v_pk_add_f32 v[4:5], v[0:1], v[4:5] neg_lo:[0,1] neg_hi:[0,1]
	s_delay_alu instid0(VALU_DEP_2) | instskip(NEXT) | instid1(VALU_DEP_2)
	v_pk_mul_f32 v[0:1], v[6:7], v[2:3]
	v_pk_mul_f32 v[2:3], v[6:7], v[4:5]
	global_store_b128 v146, v[0:3], s[16:17] scale_offset
	s_wait_xcnt 0x0
	s_or_b32 exec_lo, exec_lo, s1
	s_and_saveexec_b32 s1, s11
	s_cbranch_execz .LBB11_50
.LBB11_59:
	v_mov_b64_e32 v[2:3], s[20:21]
	v_pk_add_f32 v[0:1], v[10:11], v[14:15] neg_lo:[0,1] neg_hi:[0,1]
	v_pk_add_f32 v[4:5], v[8:9], v[12:13] neg_lo:[0,1] neg_hi:[0,1]
	s_delay_alu instid0(VALU_DEP_2) | instskip(NEXT) | instid1(VALU_DEP_2)
	v_pk_mul_f32 v[0:1], v[2:3], v[0:1]
	v_pk_mul_f32 v[2:3], v[2:3], v[4:5]
	global_store_b128 v147, v[0:3], s[16:17] scale_offset
	s_wait_xcnt 0x0
	s_or_b32 exec_lo, exec_lo, s1
	s_and_saveexec_b32 s1, s12
	s_cbranch_execz .LBB11_51
.LBB11_60:
	v_mov_b64_e32 v[2:3], s[20:21]
	v_pk_add_f32 v[0:1], v[18:19], v[22:23] neg_lo:[0,1] neg_hi:[0,1]
	v_pk_add_f32 v[4:5], v[16:17], v[20:21] neg_lo:[0,1] neg_hi:[0,1]
	s_delay_alu instid0(VALU_DEP_2) | instskip(NEXT) | instid1(VALU_DEP_2)
	v_pk_mul_f32 v[0:1], v[2:3], v[0:1]
	v_pk_mul_f32 v[2:3], v[2:3], v[4:5]
	global_store_b128 v148, v[0:3], s[16:17] scale_offset
	s_wait_xcnt 0x0
	s_or_b32 exec_lo, exec_lo, s1
	s_and_saveexec_b32 s1, s13
	s_cbranch_execz .LBB11_52
.LBB11_61:
	v_mov_b64_e32 v[2:3], s[20:21]
	v_pk_add_f32 v[0:1], v[26:27], v[30:31] neg_lo:[0,1] neg_hi:[0,1]
	v_pk_add_f32 v[4:5], v[24:25], v[28:29] neg_lo:[0,1] neg_hi:[0,1]
	s_delay_alu instid0(VALU_DEP_2) | instskip(NEXT) | instid1(VALU_DEP_2)
	v_pk_mul_f32 v[0:1], v[2:3], v[0:1]
	v_pk_mul_f32 v[2:3], v[2:3], v[4:5]
	global_store_b128 v149, v[0:3], s[16:17] scale_offset
	s_wait_xcnt 0x0
	s_or_b32 exec_lo, exec_lo, s1
	s_and_saveexec_b32 s1, s14
	s_cbranch_execz .LBB11_53
.LBB11_62:
	v_mov_b64_e32 v[2:3], s[20:21]
	v_pk_add_f32 v[0:1], v[34:35], v[38:39] neg_lo:[0,1] neg_hi:[0,1]
	v_pk_add_f32 v[4:5], v[32:33], v[36:37] neg_lo:[0,1] neg_hi:[0,1]
	s_delay_alu instid0(VALU_DEP_2) | instskip(NEXT) | instid1(VALU_DEP_2)
	v_pk_mul_f32 v[0:1], v[2:3], v[0:1]
	v_pk_mul_f32 v[2:3], v[2:3], v[4:5]
	global_store_b128 v150, v[0:3], s[16:17] scale_offset
	s_wait_xcnt 0x0
	s_or_b32 exec_lo, exec_lo, s1
	s_and_saveexec_b32 s1, s15
	s_cbranch_execz .LBB11_54
.LBB11_63:
	v_mov_b64_e32 v[2:3], s[20:21]
	v_pk_add_f32 v[0:1], v[42:43], v[46:47] neg_lo:[0,1] neg_hi:[0,1]
	v_pk_add_f32 v[4:5], v[40:41], v[44:45] neg_lo:[0,1] neg_hi:[0,1]
	s_delay_alu instid0(VALU_DEP_2) | instskip(NEXT) | instid1(VALU_DEP_2)
	v_pk_mul_f32 v[0:1], v[2:3], v[0:1]
	v_pk_mul_f32 v[2:3], v[2:3], v[4:5]
	global_store_b128 v151, v[0:3], s[16:17] scale_offset
	s_wait_xcnt 0x0
	s_or_b32 exec_lo, exec_lo, s1
	s_and_saveexec_b32 s1, s0
	s_cbranch_execz .LBB11_55
.LBB11_64:
	v_mov_b64_e32 v[2:3], s[20:21]
	v_pk_add_f32 v[0:1], v[50:51], v[54:55] neg_lo:[0,1] neg_hi:[0,1]
	v_pk_add_f32 v[4:5], v[48:49], v[52:53] neg_lo:[0,1] neg_hi:[0,1]
	s_delay_alu instid0(VALU_DEP_2) | instskip(NEXT) | instid1(VALU_DEP_2)
	v_pk_mul_f32 v[0:1], v[2:3], v[0:1]
	v_pk_mul_f32 v[2:3], v[2:3], v[4:5]
	global_store_b128 v152, v[0:3], s[16:17] scale_offset
	s_sendmsg sendmsg(MSG_DEALLOC_VGPRS)
	s_endpgm
	.section	.rodata,"a",@progbits
	.p2align	6, 0x0
	.amdhsa_kernel _Z30fast_hadamard_transform_kernelI37fast_hadamard_transform_kernel_traitsILi256ELi14EfEEv18HadamardParamsBase
		.amdhsa_group_segment_fixed_size 0
		.amdhsa_private_segment_fixed_size 0
		.amdhsa_kernarg_size 312
		.amdhsa_user_sgpr_count 2
		.amdhsa_user_sgpr_dispatch_ptr 0
		.amdhsa_user_sgpr_queue_ptr 0
		.amdhsa_user_sgpr_kernarg_segment_ptr 1
		.amdhsa_user_sgpr_dispatch_id 0
		.amdhsa_user_sgpr_kernarg_preload_length 0
		.amdhsa_user_sgpr_kernarg_preload_offset 0
		.amdhsa_user_sgpr_private_segment_size 0
		.amdhsa_wavefront_size32 1
		.amdhsa_uses_dynamic_stack 0
		.amdhsa_enable_private_segment 0
		.amdhsa_system_sgpr_workgroup_id_x 1
		.amdhsa_system_sgpr_workgroup_id_y 0
		.amdhsa_system_sgpr_workgroup_id_z 0
		.amdhsa_system_sgpr_workgroup_info 0
		.amdhsa_system_vgpr_workitem_id 0
		.amdhsa_next_free_vgpr 153
		.amdhsa_next_free_sgpr 30
		.amdhsa_named_barrier_count 0
		.amdhsa_reserve_vcc 1
		.amdhsa_float_round_mode_32 0
		.amdhsa_float_round_mode_16_64 0
		.amdhsa_float_denorm_mode_32 3
		.amdhsa_float_denorm_mode_16_64 3
		.amdhsa_fp16_overflow 0
		.amdhsa_memory_ordered 1
		.amdhsa_forward_progress 1
		.amdhsa_inst_pref_size 122
		.amdhsa_round_robin_scheduling 0
		.amdhsa_exception_fp_ieee_invalid_op 0
		.amdhsa_exception_fp_denorm_src 0
		.amdhsa_exception_fp_ieee_div_zero 0
		.amdhsa_exception_fp_ieee_overflow 0
		.amdhsa_exception_fp_ieee_underflow 0
		.amdhsa_exception_fp_ieee_inexact 0
		.amdhsa_exception_int_div_zero 0
	.end_amdhsa_kernel
	.section	.text._Z30fast_hadamard_transform_kernelI37fast_hadamard_transform_kernel_traitsILi256ELi14EfEEv18HadamardParamsBase,"axG",@progbits,_Z30fast_hadamard_transform_kernelI37fast_hadamard_transform_kernel_traitsILi256ELi14EfEEv18HadamardParamsBase,comdat
.Lfunc_end11:
	.size	_Z30fast_hadamard_transform_kernelI37fast_hadamard_transform_kernel_traitsILi256ELi14EfEEv18HadamardParamsBase, .Lfunc_end11-_Z30fast_hadamard_transform_kernelI37fast_hadamard_transform_kernel_traitsILi256ELi14EfEEv18HadamardParamsBase
                                        ; -- End function
	.set _Z30fast_hadamard_transform_kernelI37fast_hadamard_transform_kernel_traitsILi256ELi14EfEEv18HadamardParamsBase.num_vgpr, 153
	.set _Z30fast_hadamard_transform_kernelI37fast_hadamard_transform_kernel_traitsILi256ELi14EfEEv18HadamardParamsBase.num_agpr, 0
	.set _Z30fast_hadamard_transform_kernelI37fast_hadamard_transform_kernel_traitsILi256ELi14EfEEv18HadamardParamsBase.numbered_sgpr, 30
	.set _Z30fast_hadamard_transform_kernelI37fast_hadamard_transform_kernel_traitsILi256ELi14EfEEv18HadamardParamsBase.num_named_barrier, 0
	.set _Z30fast_hadamard_transform_kernelI37fast_hadamard_transform_kernel_traitsILi256ELi14EfEEv18HadamardParamsBase.private_seg_size, 0
	.set _Z30fast_hadamard_transform_kernelI37fast_hadamard_transform_kernel_traitsILi256ELi14EfEEv18HadamardParamsBase.uses_vcc, 1
	.set _Z30fast_hadamard_transform_kernelI37fast_hadamard_transform_kernel_traitsILi256ELi14EfEEv18HadamardParamsBase.uses_flat_scratch, 0
	.set _Z30fast_hadamard_transform_kernelI37fast_hadamard_transform_kernel_traitsILi256ELi14EfEEv18HadamardParamsBase.has_dyn_sized_stack, 0
	.set _Z30fast_hadamard_transform_kernelI37fast_hadamard_transform_kernel_traitsILi256ELi14EfEEv18HadamardParamsBase.has_recursion, 0
	.set _Z30fast_hadamard_transform_kernelI37fast_hadamard_transform_kernel_traitsILi256ELi14EfEEv18HadamardParamsBase.has_indirect_call, 0
	.section	.AMDGPU.csdata,"",@progbits
; Kernel info:
; codeLenInByte = 15544
; TotalNumSgprs: 32
; NumVgprs: 153
; ScratchSize: 0
; MemoryBound: 0
; FloatMode: 240
; IeeeMode: 1
; LDSByteSize: 0 bytes/workgroup (compile time only)
; SGPRBlocks: 0
; VGPRBlocks: 9
; NumSGPRsForWavesPerEU: 32
; NumVGPRsForWavesPerEU: 153
; NamedBarCnt: 0
; Occupancy: 6
; WaveLimiterHint : 0
; COMPUTE_PGM_RSRC2:SCRATCH_EN: 0
; COMPUTE_PGM_RSRC2:USER_SGPR: 2
; COMPUTE_PGM_RSRC2:TRAP_HANDLER: 0
; COMPUTE_PGM_RSRC2:TGID_X_EN: 1
; COMPUTE_PGM_RSRC2:TGID_Y_EN: 0
; COMPUTE_PGM_RSRC2:TGID_Z_EN: 0
; COMPUTE_PGM_RSRC2:TIDIG_COMP_CNT: 0
	.section	.text._Z30fast_hadamard_transform_kernelI37fast_hadamard_transform_kernel_traitsILi256ELi15EfEEv18HadamardParamsBase,"axG",@progbits,_Z30fast_hadamard_transform_kernelI37fast_hadamard_transform_kernel_traitsILi256ELi15EfEEv18HadamardParamsBase,comdat
	.protected	_Z30fast_hadamard_transform_kernelI37fast_hadamard_transform_kernel_traitsILi256ELi15EfEEv18HadamardParamsBase ; -- Begin function _Z30fast_hadamard_transform_kernelI37fast_hadamard_transform_kernel_traitsILi256ELi15EfEEv18HadamardParamsBase
	.globl	_Z30fast_hadamard_transform_kernelI37fast_hadamard_transform_kernel_traitsILi256ELi15EfEEv18HadamardParamsBase
	.p2align	8
	.type	_Z30fast_hadamard_transform_kernelI37fast_hadamard_transform_kernel_traitsILi256ELi15EfEEv18HadamardParamsBase,@function
_Z30fast_hadamard_transform_kernelI37fast_hadamard_transform_kernel_traitsILi256ELi15EfEEv18HadamardParamsBase: ; @_Z30fast_hadamard_transform_kernelI37fast_hadamard_transform_kernel_traitsILi256ELi15EfEEv18HadamardParamsBase
; %bb.0:
	s_clause 0x3
	s_load_b128 s[40:43], s[0:1], 0x10
	s_load_b32 s33, s[0:1], 0x4
	s_load_b128 s[36:39], s[0:1], 0x28
	s_load_b32 s2, s[0:1], 0x44
	s_bfe_u32 s4, ttmp6, 0x4000c
	s_and_b32 s3, ttmp6, 15
	s_add_co_i32 s4, s4, 1
	s_getreg_b32 s5, hwreg(HW_REG_IB_STS2, 6, 4)
	s_mul_i32 s4, ttmp9, s4
	v_dual_mov_b32 v2, 0 :: v_dual_lshlrev_b32 v1, 2, v0
	s_add_co_i32 s3, s3, s4
	s_cmp_eq_u32 s5, 0
	v_dual_mov_b32 v6, 0 :: v_dual_mov_b32 v7, 0
	s_cselect_b32 s44, ttmp9, s3
	v_dual_mov_b32 v8, 0 :: v_dual_mov_b32 v9, 0
	s_ashr_i32 s45, s44, 31
	s_wait_kmcnt 0x0
	s_mul_u64 s[4:5], s[40:41], s[44:45]
	v_cmp_gt_u32_e64 s20, s33, v1
	s_lshl_b64 s[4:5], s[4:5], 2
	s_delay_alu instid0(SALU_CYCLE_1)
	s_add_nc_u64 s[34:35], s[36:37], s[4:5]
	s_and_saveexec_b32 s3, s20
	s_cbranch_execz .LBB12_2
; %bb.1:
	global_load_b128 v[6:9], v0, s[34:35] scale_offset
.LBB12_2:
	s_wait_xcnt 0x0
	s_or_b32 exec_lo, exec_lo, s3
	s_and_b32 s36, 0xffff, s2
	v_dual_mov_b32 v4, 0 :: v_dual_mov_b32 v5, 0
	s_set_vgpr_msb 64                       ;  msbs: dst=1 src0=0 src1=0 src2=0
	v_add_nc_u32_e32 v36 /*v292*/, s36, v0
	s_set_vgpr_msb 4                        ;  msbs: dst=0 src0=0 src1=1 src2=0
	s_delay_alu instid0(VALU_DEP_1) | instskip(SKIP_1) | instid1(VALU_DEP_1)
	v_dual_mov_b32 v3, 0 :: v_dual_lshlrev_b32 v1, 2, v36 /*v292*/
	s_set_vgpr_msb 0                        ;  msbs: dst=0 src0=0 src1=0 src2=0
	v_cmp_gt_u32_e64 s15, s33, v1
	s_and_saveexec_b32 s2, s15
	s_cbranch_execz .LBB12_4
; %bb.3:
	s_set_vgpr_msb 1                        ;  msbs: dst=0 src0=1 src1=0 src2=0
	global_load_b128 v[2:5], v36 /*v292*/, s[34:35] scale_offset
.LBB12_4:
	s_wait_xcnt 0x0
	s_or_b32 exec_lo, exec_lo, s2
	s_set_vgpr_msb 0x44                     ;  msbs: dst=1 src0=0 src1=1 src2=0
	v_add_nc_u32_e32 v31 /*v287*/, s36, v36 /*v292*/
	s_set_vgpr_msb 4                        ;  msbs: dst=0 src0=0 src1=1 src2=0
	v_dual_mov_b32 v14, 0 :: v_dual_mov_b32 v15, 0
	v_dual_mov_b32 v16, 0 :: v_dual_mov_b32 v17, 0
	s_delay_alu instid0(VALU_DEP_3) | instskip(SKIP_1) | instid1(VALU_DEP_1)
	v_dual_mov_b32 v10, 0 :: v_dual_lshlrev_b32 v1, 2, v31 /*v287*/
	s_set_vgpr_msb 0                        ;  msbs: dst=0 src0=0 src1=0 src2=0
	v_cmp_gt_u32_e64 s10, s33, v1
	s_and_saveexec_b32 s2, s10
	s_cbranch_execz .LBB12_6
; %bb.5:
	s_set_vgpr_msb 1                        ;  msbs: dst=0 src0=1 src1=0 src2=0
	global_load_b128 v[14:17], v31 /*v287*/, s[34:35] scale_offset
.LBB12_6:
	s_wait_xcnt 0x0
	s_or_b32 exec_lo, exec_lo, s2
	s_set_vgpr_msb 0x44                     ;  msbs: dst=1 src0=0 src1=1 src2=0
	v_add_nc_u32_e32 v27 /*v283*/, s36, v31 /*v287*/
	s_set_vgpr_msb 4                        ;  msbs: dst=0 src0=0 src1=1 src2=0
	v_dual_mov_b32 v12, 0 :: v_dual_mov_b32 v13, 0
	s_delay_alu instid0(VALU_DEP_2) | instskip(SKIP_1) | instid1(VALU_DEP_1)
	v_dual_mov_b32 v11, 0 :: v_dual_lshlrev_b32 v1, 2, v27 /*v283*/
	s_set_vgpr_msb 0                        ;  msbs: dst=0 src0=0 src1=0 src2=0
	v_cmp_gt_u32_e64 s6, s33, v1
	s_and_saveexec_b32 s2, s6
	s_cbranch_execz .LBB12_8
; %bb.7:
	s_set_vgpr_msb 1                        ;  msbs: dst=0 src0=1 src1=0 src2=0
	global_load_b128 v[10:13], v27 /*v283*/, s[34:35] scale_offset
.LBB12_8:
	s_wait_xcnt 0x0
	s_or_b32 exec_lo, exec_lo, s2
	s_set_vgpr_msb 0x44                     ;  msbs: dst=1 src0=0 src1=1 src2=0
	v_add_nc_u32_e32 v26 /*v282*/, s36, v27 /*v283*/
	s_set_vgpr_msb 4                        ;  msbs: dst=0 src0=0 src1=1 src2=0
	v_dual_mov_b32 v22, 0 :: v_dual_mov_b32 v23, 0
	v_dual_mov_b32 v24, 0 :: v_dual_mov_b32 v25, 0
	s_delay_alu instid0(VALU_DEP_3) | instskip(SKIP_1) | instid1(VALU_DEP_1)
	v_dual_mov_b32 v18, 0 :: v_dual_lshlrev_b32 v1, 2, v26 /*v282*/
	s_set_vgpr_msb 0                        ;  msbs: dst=0 src0=0 src1=0 src2=0
	v_cmp_gt_u32_e64 s5, s33, v1
	s_and_saveexec_b32 s2, s5
	s_cbranch_execz .LBB12_10
; %bb.9:
	s_set_vgpr_msb 1                        ;  msbs: dst=0 src0=1 src1=0 src2=0
	global_load_b128 v[22:25], v26 /*v282*/, s[34:35] scale_offset
.LBB12_10:
	s_wait_xcnt 0x0
	s_or_b32 exec_lo, exec_lo, s2
	s_set_vgpr_msb 0x44                     ;  msbs: dst=1 src0=0 src1=1 src2=0
	v_add_nc_u32_e32 v24 /*v280*/, s36, v26 /*v282*/
	s_set_vgpr_msb 4                        ;  msbs: dst=0 src0=0 src1=1 src2=0
	v_dual_mov_b32 v20, 0 :: v_dual_mov_b32 v21, 0
	s_delay_alu instid0(VALU_DEP_2) | instskip(SKIP_1) | instid1(VALU_DEP_1)
	;; [unrolled: 33-line block ×3, first 2 shown]
	v_dual_mov_b32 v27, 0 :: v_dual_lshlrev_b32 v1, 2, v22 /*v278*/
	s_set_vgpr_msb 0                        ;  msbs: dst=0 src0=0 src1=0 src2=0
	v_cmp_gt_u32_e32 vcc_lo, s33, v1
	s_and_saveexec_b32 s4, vcc_lo
	s_cbranch_execz .LBB12_16
; %bb.15:
	s_set_vgpr_msb 1                        ;  msbs: dst=0 src0=1 src1=0 src2=0
	global_load_b128 v[26:29], v22 /*v278*/, s[34:35] scale_offset
.LBB12_16:
	s_wait_xcnt 0x0
	s_or_b32 exec_lo, exec_lo, s4
	s_set_vgpr_msb 0x44                     ;  msbs: dst=1 src0=0 src1=1 src2=0
	v_add_nc_u32_e32 v25 /*v281*/, s36, v22 /*v278*/
	s_set_vgpr_msb 4                        ;  msbs: dst=0 src0=0 src1=1 src2=0
	v_dual_mov_b32 v38, 0 :: v_dual_mov_b32 v39, 0
	v_dual_mov_b32 v40, 0 :: v_dual_mov_b32 v41, 0
	s_delay_alu instid0(VALU_DEP_3) | instskip(SKIP_1) | instid1(VALU_DEP_1)
	v_dual_mov_b32 v34, 0 :: v_dual_lshlrev_b32 v1, 2, v25 /*v281*/
	s_set_vgpr_msb 0                        ;  msbs: dst=0 src0=0 src1=0 src2=0
	v_cmp_gt_u32_e64 s4, s33, v1
	s_and_saveexec_b32 s7, s4
	s_cbranch_execz .LBB12_18
; %bb.17:
	s_set_vgpr_msb 1                        ;  msbs: dst=0 src0=1 src1=0 src2=0
	global_load_b128 v[38:41], v25 /*v281*/, s[34:35] scale_offset
.LBB12_18:
	s_wait_xcnt 0x0
	s_or_b32 exec_lo, exec_lo, s7
	s_set_vgpr_msb 0x44                     ;  msbs: dst=1 src0=0 src1=1 src2=0
	v_add_nc_u32_e32 v28 /*v284*/, s36, v25 /*v281*/
	s_set_vgpr_msb 4                        ;  msbs: dst=0 src0=0 src1=1 src2=0
	v_dual_mov_b32 v36, 0 :: v_dual_mov_b32 v37, 0
	s_delay_alu instid0(VALU_DEP_2) | instskip(SKIP_1) | instid1(VALU_DEP_1)
	v_dual_mov_b32 v35, 0 :: v_dual_lshlrev_b32 v1, 2, v28 /*v284*/
	s_set_vgpr_msb 0                        ;  msbs: dst=0 src0=0 src1=0 src2=0
	v_cmp_gt_u32_e64 s7, s33, v1
	s_and_saveexec_b32 s8, s7
	s_cbranch_execz .LBB12_20
; %bb.19:
	s_set_vgpr_msb 1                        ;  msbs: dst=0 src0=1 src1=0 src2=0
	global_load_b128 v[34:37], v28 /*v284*/, s[34:35] scale_offset
.LBB12_20:
	s_wait_xcnt 0x0
	s_or_b32 exec_lo, exec_lo, s8
	s_set_vgpr_msb 0x44                     ;  msbs: dst=1 src0=0 src1=1 src2=0
	v_add_nc_u32_e32 v29 /*v285*/, s36, v28 /*v284*/
	s_set_vgpr_msb 4                        ;  msbs: dst=0 src0=0 src1=1 src2=0
	v_dual_mov_b32 v46, 0 :: v_dual_mov_b32 v47, 0
	v_dual_mov_b32 v48, 0 :: v_dual_mov_b32 v49, 0
	s_delay_alu instid0(VALU_DEP_3) | instskip(SKIP_1) | instid1(VALU_DEP_1)
	v_dual_mov_b32 v42, 0 :: v_dual_lshlrev_b32 v1, 2, v29 /*v285*/
	s_set_vgpr_msb 0                        ;  msbs: dst=0 src0=0 src1=0 src2=0
	v_cmp_gt_u32_e64 s8, s33, v1
	s_and_saveexec_b32 s9, s8
	s_cbranch_execz .LBB12_22
; %bb.21:
	s_set_vgpr_msb 1                        ;  msbs: dst=0 src0=1 src1=0 src2=0
	global_load_b128 v[46:49], v29 /*v285*/, s[34:35] scale_offset
.LBB12_22:
	s_wait_xcnt 0x0
	s_or_b32 exec_lo, exec_lo, s9
	s_set_vgpr_msb 0x44                     ;  msbs: dst=1 src0=0 src1=1 src2=0
	v_add_nc_u32_e32 v30 /*v286*/, s36, v29 /*v285*/
	s_set_vgpr_msb 4                        ;  msbs: dst=0 src0=0 src1=1 src2=0
	v_dual_mov_b32 v44, 0 :: v_dual_mov_b32 v45, 0
	s_delay_alu instid0(VALU_DEP_2) | instskip(SKIP_1) | instid1(VALU_DEP_1)
	v_dual_mov_b32 v43, 0 :: v_dual_lshlrev_b32 v1, 2, v30 /*v286*/
	s_set_vgpr_msb 0                        ;  msbs: dst=0 src0=0 src1=0 src2=0
	v_cmp_gt_u32_e64 s9, s33, v1
	s_and_saveexec_b32 s11, s9
	;; [unrolled: 33-line block ×11, first 2 shown]
	s_cbranch_execz .LBB12_60
; %bb.59:
	s_set_vgpr_msb 1                        ;  msbs: dst=0 src0=1 src1=0 src2=0
	global_load_b128 v[114:117], v50 /*v306*/, s[34:35] scale_offset
.LBB12_60:
	s_wait_xcnt 0x0
	s_or_b32 exec_lo, exec_lo, s31
	s_set_vgpr_msb 0x44                     ;  msbs: dst=1 src0=0 src1=1 src2=0
	v_add_nc_u32_e32 v51 /*v307*/, s36, v50 /*v306*/
	s_set_vgpr_msb 4                        ;  msbs: dst=0 src0=0 src1=1 src2=0
	v_dual_mov_b32 v126, 0 :: v_dual_mov_b32 v127, 0
	v_dual_mov_b32 v128, 0 :: v_dual_mov_b32 v129, 0
	s_delay_alu instid0(VALU_DEP_3) | instskip(SKIP_1) | instid1(VALU_DEP_1)
	v_dual_mov_b32 v122, 0 :: v_dual_lshlrev_b32 v1, 2, v51 /*v307*/
	s_set_vgpr_msb 0                        ;  msbs: dst=0 src0=0 src1=0 src2=0
	v_cmp_gt_u32_e64 s31, s33, v1
	s_and_saveexec_b32 s37, s31
	s_cbranch_execz .LBB12_62
; %bb.61:
	s_set_vgpr_msb 1                        ;  msbs: dst=0 src0=1 src1=0 src2=0
	global_load_b128 v[126:129], v51 /*v307*/, s[34:35] scale_offset
.LBB12_62:
	s_wait_xcnt 0x0
	s_or_b32 exec_lo, exec_lo, s37
	s_load_b32 s40, s[0:1], 0x20
	s_set_vgpr_msb 0x44                     ;  msbs: dst=1 src0=0 src1=1 src2=0
	v_add_nc_u32_e32 v52 /*v308*/, s36, v51 /*v307*/
	s_set_vgpr_msb 4                        ;  msbs: dst=0 src0=0 src1=1 src2=0
	v_dual_mov_b32 v124, 0 :: v_dual_mov_b32 v125, 0
	s_delay_alu instid0(VALU_DEP_2) | instskip(SKIP_2) | instid1(VALU_DEP_1)
	v_dual_mov_b32 v123, 0 :: v_dual_lshlrev_b32 v1, 2, v52 /*v308*/
	s_wait_xcnt 0x0
	s_set_vgpr_msb 0                        ;  msbs: dst=0 src0=0 src1=0 src2=0
	v_cmp_gt_u32_e64 s0, s33, v1
	s_and_saveexec_b32 s1, s0
	s_cbranch_execz .LBB12_64
; %bb.63:
	s_set_vgpr_msb 1                        ;  msbs: dst=0 src0=1 src1=0 src2=0
	global_load_b128 v[122:125], v52 /*v308*/, s[34:35] scale_offset
.LBB12_64:
	s_wait_xcnt 0x0
	s_or_b32 exec_lo, exec_lo, s1
	s_wait_loadcnt 0x0
	s_set_vgpr_msb 0                        ;  msbs: dst=0 src0=0 src1=0 src2=0
	v_dual_add_f32 v1, v6, v7 :: v_dual_add_f32 v130, v8, v9
	v_dual_add_f32 v131, v2, v3 :: v_dual_add_f32 v132, v4, v5
	;; [unrolled: 1-line block ×3, first 2 shown]
	s_delay_alu instid0(VALU_DEP_3) | instskip(NEXT) | instid1(VALU_DEP_3)
	v_dual_add_f32 v133, v130, v1 :: v_dual_sub_f32 v130, v1, v130
	v_dual_add_f32 v134, v132, v131 :: v_dual_sub_f32 v131, v131, v132
	v_dual_add_f32 v1, v14, v15 :: v_dual_add_f32 v132, v16, v17
	v_dual_add_f32 v137, v22, v23 :: v_dual_add_f32 v138, v24, v25
	v_dual_add_f32 v140, v136, v135 :: v_dual_sub_f32 v135, v135, v136
	s_delay_alu instid0(VALU_DEP_3) | instskip(NEXT) | instid1(VALU_DEP_3)
	v_dual_add_f32 v139, v132, v1 :: v_dual_sub_f32 v132, v1, v132
	v_dual_add_f32 v136, v138, v137 :: v_dual_sub_f32 v137, v137, v138
	v_dual_add_f32 v1, v18, v19 :: v_dual_add_f32 v138, v20, v21
	v_dual_add_f32 v141, v30, v31 :: v_dual_add_f32 v142, v32, v33
	;; [unrolled: 1-line block ×3, first 2 shown]
	s_delay_alu instid0(VALU_DEP_3) | instskip(NEXT) | instid1(VALU_DEP_3)
	v_dual_add_f32 v145, v138, v1 :: v_dual_sub_f32 v138, v1, v138
	v_dual_add_f32 v146, v142, v141 :: v_dual_sub_f32 v141, v141, v142
	s_delay_alu instid0(VALU_DEP_3) | instskip(SKIP_3) | instid1(VALU_DEP_3)
	v_dual_add_f32 v142, v144, v143 :: v_dual_sub_f32 v143, v143, v144
	v_dual_add_f32 v1, v38, v39 :: v_dual_add_f32 v144, v40, v41
	v_dual_add_f32 v147, v34, v35 :: v_dual_add_f32 v148, v36, v37
	;; [unrolled: 1-line block ×3, first 2 shown]
	v_dual_add_f32 v151, v144, v1 :: v_dual_sub_f32 v144, v1, v144
	s_delay_alu instid0(VALU_DEP_3) | instskip(NEXT) | instid1(VALU_DEP_3)
	v_dual_add_f32 v152, v148, v147 :: v_dual_sub_f32 v147, v147, v148
	v_dual_add_f32 v148, v150, v149 :: v_dual_sub_f32 v149, v149, v150
	v_dual_add_f32 v1, v42, v43 :: v_dual_add_f32 v150, v44, v45
	v_dual_add_f32 v153, v54, v55 :: v_dual_add_f32 v154, v56, v57
	v_dual_sub_f32 v8, v8, v9 :: v_dual_sub_f32 v6, v6, v7
	v_dual_add_f32 v7, v50, v51 :: v_dual_add_f32 v9, v52, v53
	s_delay_alu instid0(VALU_DEP_4) | instskip(NEXT) | instid1(VALU_DEP_4)
	v_dual_add_f32 v155, v150, v1 :: v_dual_sub_f32 v150, v1, v150
	v_dual_add_f32 v156, v154, v153 :: v_dual_sub_f32 v153, v153, v154
	s_delay_alu instid0(VALU_DEP_3)
	v_dual_add_f32 v154, v9, v7 :: v_dual_sub_f32 v7, v7, v9
	v_dual_sub_f32 v1, v4, v5 :: v_dual_sub_f32 v2, v2, v3
	v_dual_add_f32 v3, v62, v63 :: v_dual_add_f32 v4, v64, v65
	v_dual_sub_f32 v5, v16, v17 :: v_dual_sub_f32 v9, v14, v15
	v_dual_add_f32 v14, v58, v59 :: v_dual_add_f32 v15, v60, v61
	v_dual_sub_f32 v12, v12, v13 :: v_dual_sub_f32 v10, v10, v11
	v_dual_add_f32 v11, v74, v75 :: v_dual_add_f32 v13, v76, v77
	v_dual_add_f32 v16, v4, v3 :: v_dual_sub_f32 v3, v3, v4
	s_delay_alu instid0(VALU_DEP_4) | instskip(NEXT) | instid1(VALU_DEP_3)
	v_dual_add_f32 v4, v15, v14 :: v_dual_sub_f32 v14, v14, v15
	v_dual_add_f32 v15, v13, v11 :: v_dual_sub_f32 v11, v11, v13
	v_dual_sub_f32 v13, v24, v25 :: v_dual_sub_f32 v17, v22, v23
	v_dual_add_f32 v22, v66, v67 :: v_dual_add_f32 v23, v68, v69
	v_dual_sub_f32 v20, v20, v21 :: v_dual_sub_f32 v18, v18, v19
	v_dual_add_f32 v19, v82, v83 :: v_dual_add_f32 v21, v84, v85
	v_dual_sub_f32 v24, v32, v33 :: v_dual_sub_f32 v25, v30, v31
	v_dual_add_f32 v30, v70, v71 :: v_dual_add_f32 v31, v72, v73
	v_dual_add_f32 v32, v23, v22 :: v_dual_sub_f32 v22, v22, v23
	s_delay_alu instid0(VALU_DEP_4) | instskip(NEXT) | instid1(VALU_DEP_3)
	v_dual_add_f32 v23, v21, v19 :: v_dual_sub_f32 v19, v19, v21
	;; [unrolled: 10-line block ×6, first 2 shown]
	v_dual_add_f32 v69, v83, v82 :: v_dual_sub_f32 v82, v82, v83
	v_dual_add_f32 v83, v6, v8 :: v_dual_sub_f32 v6, v6, v8
	;; [unrolled: 1-line block ×3, first 2 shown]
	v_dual_sub_f32 v1, v72, v73 :: v_dual_sub_f32 v2, v70, v71
	v_dual_add_f32 v157, v9, v5 :: v_dual_sub_f32 v5, v9, v5
	v_dual_add_f32 v9, v10, v12 :: v_dual_sub_f32 v10, v10, v12
	;; [unrolled: 1-line block ×17, first 2 shown]
	v_dual_sub_f32 v71, v88, v89 :: v_dual_sub_f32 v72, v86, v87
	v_dual_add_f32 v73, v2, v1 :: v_dual_sub_f32 v76, v2, v1
	v_dual_sub_f32 v1, v80, v81 :: v_dual_sub_f32 v2, v78, v79
	s_delay_alu instid0(VALU_DEP_3) | instskip(SKIP_1) | instid1(VALU_DEP_3)
	v_dual_add_f32 v77, v72, v71 :: v_dual_sub_f32 v71, v72, v71
	v_dual_sub_f32 v72, v96, v97 :: v_dual_sub_f32 v78, v94, v95
	v_dual_add_f32 v79, v2, v1 :: v_dual_sub_f32 v80, v2, v1
	v_dual_sub_f32 v1, v92, v93 :: v_dual_sub_f32 v81, v90, v91
	v_mbcnt_lo_u32_b32 v2, -1, 0
	s_delay_alu instid0(VALU_DEP_4) | instskip(SKIP_1) | instid1(VALU_DEP_4)
	v_dual_add_f32 v86, v78, v72 :: v_dual_sub_f32 v72, v78, v72
	v_dual_sub_f32 v78, v104, v105 :: v_dual_sub_f32 v87, v102, v103
	v_dual_add_f32 v88, v81, v1 :: v_dual_sub_f32 v90, v98, v99
	v_sub_f32_e32 v89, v100, v101
	s_delay_alu instid0(VALU_DEP_3) | instskip(SKIP_2) | instid1(VALU_DEP_4)
	v_dual_sub_f32 v81, v81, v1 :: v_dual_add_f32 v91, v87, v78
	v_dual_sub_f32 v92, v112, v113 :: v_dual_bitop2_b32 v1, 1, v2 bitop3:0x14
	v_dual_sub_f32 v93, v110, v111 :: v_dual_sub_f32 v78, v87, v78
	v_add_f32_e32 v87, v90, v89
	s_delay_alu instid0(VALU_DEP_3) | instskip(SKIP_1) | instid1(VALU_DEP_4)
	v_cmp_gt_i32_e64 s1, 32, v1
	v_dual_sub_f32 v94, v108, v109 :: v_dual_sub_f32 v95, v106, v107
	v_dual_sub_f32 v89, v90, v89 :: v_dual_add_f32 v90, v93, v92
	s_delay_alu instid0(VALU_DEP_3) | instskip(NEXT) | instid1(VALU_DEP_3)
	v_dual_cndmask_b32 v1, v2, v1, s1 :: v_dual_sub_f32 v92, v93, v92
	v_dual_add_f32 v93, v95, v94 :: v_dual_sub_f32 v96, v120, v121
	s_delay_alu instid0(VALU_DEP_2)
	v_dual_sub_f32 v97, v118, v119 :: v_dual_lshlrev_b32 v1, 2, v1
	v_dual_sub_f32 v94, v95, v94 :: v_dual_bitop2_b32 v100, 1, v0 bitop3:0x40
	v_dual_sub_f32 v98, v116, v117 :: v_dual_sub_f32 v99, v114, v115
	ds_bpermute_b32 v95, v1, v133
	ds_bpermute_b32 v109, v1, v8
	;; [unrolled: 1-line block ×6, first 2 shown]
	v_dual_add_f32 v101, v97, v96 :: v_dual_sub_f32 v96, v97, v96
	v_dual_add_f32 v97, v99, v98 :: v_dual_sub_f32 v98, v99, v98
	v_dual_sub_f32 v99, v128, v129 :: v_dual_sub_f32 v102, v126, v127
	v_cmp_eq_u32_e64 s1, 0, v100
	ds_bpermute_b32 v111, v1, v131
	ds_bpermute_b32 v112, v1, v85
	ds_bpermute_b32 v113, v1, v139
	ds_bpermute_b32 v114, v1, v157
	ds_bpermute_b32 v115, v1, v132
	v_dual_sub_f32 v103, v124, v125 :: v_dual_sub_f32 v104, v122, v123
	v_dual_cndmask_b32 v100, -v133, v133, s1 :: v_dual_add_f32 v110, v102, v99
	v_dual_sub_f32 v99, v102, v99 :: v_dual_cndmask_b32 v8, -v8, v8, s1
	s_delay_alu instid0(VALU_DEP_3) | instskip(SKIP_1) | instid1(VALU_DEP_3)
	v_dual_add_f32 v102, v104, v103 :: v_dual_sub_f32 v103, v104, v103
	s_wait_dscnt 0xa
	v_dual_add_f32 v95, v100, v95 :: v_dual_cndmask_b32 v100, -v130, v130, s1
	v_dual_cndmask_b32 v83, -v83, v83, s1 :: v_dual_cndmask_b32 v6, -v6, v6, s1
	s_wait_dscnt 0x9
	v_dual_cndmask_b32 v104, -v134, v134, s1 :: v_dual_add_f32 v8, v8, v109
	ds_bpermute_b32 v109, v1, v5
	ds_bpermute_b32 v116, v1, v140
	;; [unrolled: 1-line block ×4, first 2 shown]
	s_wait_dscnt 0xb
	v_dual_add_f32 v83, v83, v105 :: v_dual_add_f32 v100, v100, v106
	s_wait_dscnt 0x9
	v_dual_add_f32 v6, v6, v107 :: v_dual_add_f32 v104, v104, v108
	v_dual_cndmask_b32 v105, -v131, v131, s1 :: v_dual_cndmask_b32 v85, -v85, v85, s1
	v_dual_cndmask_b32 v108, -v132, v132, s1 :: v_dual_cndmask_b32 v106, -v139, v139, s1
	v_cndmask_b32_e64 v107, -v157, v157, s1
	ds_bpermute_b32 v117, v1, v9
	s_wait_dscnt 0x9
	v_add_f32_e32 v105, v105, v111
	s_wait_dscnt 0x5
	v_dual_add_f32 v108, v108, v115 :: v_dual_add_f32 v85, v85, v112
	v_dual_add_f32 v107, v107, v114 :: v_dual_add_f32 v106, v106, v113
	ds_bpermute_b32 v113, v1, v136
	ds_bpermute_b32 v114, v1, v12
	ds_bpermute_b32 v115, v1, v137
	ds_bpermute_b32 v120, v1, v13
	ds_bpermute_b32 v121, v1, v145
	v_dual_cndmask_b32 v5, -v5, v5, s1 :: v_dual_cndmask_b32 v111, -v140, v140, s1
	v_dual_cndmask_b32 v9, -v9, v9, s1 :: v_dual_cndmask_b32 v112, -v135, v135, s1
	s_wait_dscnt 0x9
	s_delay_alu instid0(VALU_DEP_2)
	v_dual_cndmask_b32 v10, -v10, v10, s1 :: v_dual_add_f32 v5, v5, v109
	s_wait_dscnt 0x8
	v_add_f32_e32 v109, v111, v116
	ds_bpermute_b32 v123, v1, v146
	s_wait_dscnt 0x7
	v_dual_add_f32 v111, v112, v118 :: v_dual_add_f32 v10, v10, v119
	ds_bpermute_b32 v118, v1, v17
	ds_bpermute_b32 v119, v1, v138
	s_wait_dscnt 0x8
	v_dual_add_f32 v9, v9, v117 :: v_dual_cndmask_b32 v112, -v136, v136, s1
	v_dual_cndmask_b32 v116, -v137, v137, s1 :: v_dual_cndmask_b32 v12, -v12, v12, s1
	v_cndmask_b32_e64 v13, -v13, v13, s1
	v_cndmask_b32_e64 v117, -v145, v145, s1
	ds_bpermute_b32 v122, v1, v18
	ds_bpermute_b32 v124, v1, v20
	s_wait_dscnt 0x6
	v_dual_add_f32 v112, v112, v113 :: v_dual_add_f32 v13, v13, v120
	v_add_f32_e32 v12, v12, v114
	s_wait_dscnt 0x5
	v_dual_add_f32 v113, v116, v115 :: v_dual_add_f32 v114, v117, v121
	ds_bpermute_b32 v117, v1, v141
	ds_bpermute_b32 v120, v1, v24
	;; [unrolled: 1-line block ×5, first 2 shown]
	v_dual_cndmask_b32 v17, -v17, v17, s1 :: v_dual_cndmask_b32 v115, -v138, v138, s1
	v_cndmask_b32_e64 v116, -v146, v146, s1
	v_dual_cndmask_b32 v18, -v18, v18, s1 :: v_dual_cndmask_b32 v20, -v20, v20, s1
	ds_bpermute_b32 v127, v1, v28
	s_wait_dscnt 0x8
	v_dual_add_f32 v115, v115, v119 :: v_dual_add_f32 v17, v17, v118
	v_add_f32_e32 v116, v116, v123
	ds_bpermute_b32 v123, v1, v26
	ds_bpermute_b32 v128, v1, v144
	s_wait_dscnt 0x8
	v_dual_add_f32 v18, v18, v122 :: v_dual_add_f32 v20, v20, v124
	v_dual_cndmask_b32 v118, -v141, v141, s1 :: v_dual_cndmask_b32 v24, -v24, v24, s1
	v_dual_cndmask_b32 v119, -v142, v142, s1 :: v_dual_cndmask_b32 v25, -v25, v25, s1
	s_wait_dscnt 0x7
	s_delay_alu instid0(VALU_DEP_2)
	v_dual_cndmask_b32 v122, -v143, v143, s1 :: v_dual_add_f32 v117, v118, v117
	ds_bpermute_b32 v124, v1, v151
	ds_bpermute_b32 v129, v1, v31
	s_wait_dscnt 0x7
	v_dual_add_f32 v24, v24, v120 :: v_dual_add_f32 v118, v119, v121
	s_wait_dscnt 0x5
	v_dual_add_f32 v25, v25, v125 :: v_dual_add_f32 v119, v122, v126
	ds_bpermute_b32 v122, v1, v152
	ds_bpermute_b32 v125, v1, v33
	;; [unrolled: 1-line block ×4, first 2 shown]
	v_dual_cndmask_b32 v26, -v26, v26, s1 :: v_dual_cndmask_b32 v120, -v151, v151, s1
	v_dual_cndmask_b32 v28, -v28, v28, s1 :: v_dual_cndmask_b32 v31, -v31, v31, s1
	s_wait_dscnt 0x7
	s_delay_alu instid0(VALU_DEP_2)
	v_dual_cndmask_b32 v121, -v144, v144, s1 :: v_dual_add_f32 v26, v26, v123
	ds_bpermute_b32 v126, v1, v147
	v_add_f32_e32 v28, v28, v127
	ds_bpermute_b32 v133, v1, v155
	s_wait_dscnt 0x8
	v_add_f32_e32 v121, v121, v128
	ds_bpermute_b32 v128, v1, v36
	ds_bpermute_b32 v134, v1, v41
	s_wait_dscnt 0x8
	v_dual_add_f32 v120, v120, v124 :: v_dual_add_f32 v31, v31, v129
	v_dual_cndmask_b32 v123, -v152, v152, s1 :: v_dual_cndmask_b32 v33, -v33, v33, s1
	v_dual_cndmask_b32 v124, -v147, v147, s1 :: v_dual_cndmask_b32 v34, -v34, v34, s1
	s_wait_dscnt 0x7
	s_delay_alu instid0(VALU_DEP_2)
	v_dual_cndmask_b32 v127, -v148, v148, s1 :: v_dual_add_f32 v123, v123, v122
	ds_bpermute_b32 v129, v1, v149
	ds_bpermute_b32 v132, v1, v37
	s_wait_dscnt 0x7
	v_dual_add_f32 v33, v33, v125 :: v_dual_add_f32 v34, v34, v130
	s_wait_dscnt 0x6
	v_add_f32_e32 v125, v127, v131
	ds_bpermute_b32 v127, v1, v150
	ds_bpermute_b32 v130, v1, v42
	;; [unrolled: 1-line block ×5, first 2 shown]
	s_wait_dscnt 0xa
	v_add_f32_e32 v124, v124, v126
	v_dual_cndmask_b32 v36, -v36, v36, s1 :: v_dual_cndmask_b32 v122, -v149, v149, s1
	v_dual_cndmask_b32 v37, -v37, v37, s1 :: v_dual_cndmask_b32 v126, -v155, v155, s1
	s_wait_dscnt 0x8
	s_delay_alu instid0(VALU_DEP_2)
	v_dual_cndmask_b32 v41, -v41, v41, s1 :: v_dual_add_f32 v36, v36, v128
	ds_bpermute_b32 v137, v1, v49
	ds_bpermute_b32 v138, v1, v7
	s_wait_dscnt 0x9
	v_dual_add_f32 v126, v126, v133 :: v_dual_add_f32 v41, v41, v134
	ds_bpermute_b32 v133, v1, v48
	ds_bpermute_b32 v134, v1, v154
	s_wait_dscnt 0x9
	v_dual_add_f32 v128, v122, v129 :: v_dual_add_f32 v37, v37, v132
	v_dual_cndmask_b32 v122, -v150, v150, s1 :: v_dual_cndmask_b32 v129, -v156, v156, s1
	v_dual_cndmask_b32 v42, -v42, v42, s1 :: v_dual_cndmask_b32 v44, -v44, v44, s1
	s_wait_dscnt 0x8
	s_delay_alu instid0(VALU_DEP_2)
	v_dual_cndmask_b32 v132, -v153, v153, s1 :: v_dual_add_f32 v127, v122, v127
	ds_bpermute_b32 v139, v1, v50
	s_wait_dscnt 0x7
	v_dual_add_f32 v42, v42, v130 :: v_dual_add_f32 v129, v129, v131
	s_wait_dscnt 0x6
	v_dual_add_f32 v44, v44, v135 :: v_dual_cndmask_b32 v122, -v154, v154, s1
	s_wait_dscnt 0x5
	v_dual_add_f32 v130, v132, v136 :: v_dual_cndmask_b32 v49, -v49, v49, s1
	ds_bpermute_b32 v131, v1, v16
	ds_bpermute_b32 v132, v1, v52
	;; [unrolled: 1-line block ×4, first 2 shown]
	v_dual_cndmask_b32 v48, -v48, v48, s1 :: v_dual_cndmask_b32 v7, -v7, v7, s1
	ds_bpermute_b32 v140, v1, v4
	s_wait_dscnt 0x9
	v_dual_cndmask_b32 v50, -v50, v50, s1 :: v_dual_add_f32 v49, v49, v137
	s_wait_dscnt 0x6
	v_dual_add_f32 v48, v48, v133 :: v_dual_add_f32 v133, v122, v134
	v_add_f32_e32 v7, v7, v138
	ds_bpermute_b32 v122, v1, v57
	ds_bpermute_b32 v137, v1, v58
	;; [unrolled: 1-line block ×3, first 2 shown]
	s_wait_dscnt 0x8
	v_dual_add_f32 v50, v50, v139 :: v_dual_cndmask_b32 v16, -v16, v16, s1
	v_dual_cndmask_b32 v3, -v3, v3, s1 :: v_dual_cndmask_b32 v52, -v52, v52, s1
	v_cndmask_b32_e64 v55, -v55, v55, s1
	ds_bpermute_b32 v134, v1, v14
	ds_bpermute_b32 v139, v1, v60
	s_wait_dscnt 0x7
	v_dual_cndmask_b32 v4, -v4, v4, s1 :: v_dual_add_f32 v3, v3, v135
	s_wait_dscnt 0x6
	v_dual_add_f32 v16, v16, v131 :: v_dual_add_f32 v55, v55, v136
	v_dual_add_f32 v52, v52, v132 :: v_dual_cndmask_b32 v57, -v57, v57, s1
	ds_bpermute_b32 v131, v1, v11
	ds_bpermute_b32 v132, v1, v61
	;; [unrolled: 1-line block ×4, first 2 shown]
	s_wait_dscnt 0x9
	v_dual_add_f32 v4, v4, v140 :: v_dual_cndmask_b32 v14, -v14, v14, s1
	v_dual_cndmask_b32 v58, -v58, v58, s1 :: v_dual_cndmask_b32 v15, -v15, v15, s1
	ds_bpermute_b32 v140, v1, v22
	s_wait_dscnt 0x9
	v_dual_cndmask_b32 v60, -v60, v60, s1 :: v_dual_add_f32 v57, v57, v122
	s_wait_dscnt 0x7
	v_dual_add_f32 v58, v58, v137 :: v_dual_add_f32 v15, v15, v138
	ds_bpermute_b32 v122, v1, v66
	ds_bpermute_b32 v137, v1, v68
	;; [unrolled: 1-line block ×3, first 2 shown]
	s_wait_dscnt 0x8
	v_dual_add_f32 v14, v14, v134 :: v_dual_add_f32 v60, v60, v139
	v_dual_cndmask_b32 v11, -v11, v11, s1 :: v_dual_cndmask_b32 v61, -v61, v61, s1
	v_dual_cndmask_b32 v32, -v32, v32, s1 :: v_dual_cndmask_b32 v65, -v65, v65, s1
	ds_bpermute_b32 v134, v1, v23
	ds_bpermute_b32 v139, v1, v70
	s_wait_dscnt 0x9
	v_dual_cndmask_b32 v22, -v22, v22, s1 :: v_dual_add_f32 v11, v11, v131
	s_wait_dscnt 0x7
	v_dual_add_f32 v61, v61, v132 :: v_dual_add_f32 v32, v32, v135
	s_wait_dscnt 0x6
	v_dual_add_f32 v65, v65, v136 :: v_dual_cndmask_b32 v66, -v66, v66, s1
	ds_bpermute_b32 v131, v1, v21
	ds_bpermute_b32 v132, v1, v73
	;; [unrolled: 1-line block ×4, first 2 shown]
	s_wait_dscnt 0x9
	v_dual_add_f32 v22, v22, v140 :: v_dual_cndmask_b32 v23, -v23, v23, s1
	v_dual_cndmask_b32 v68, -v68, v68, s1 :: v_dual_cndmask_b32 v19, -v19, v19, s1
	ds_bpermute_b32 v140, v1, v40
	v_cndmask_b32_e64 v70, -v70, v70, s1
	s_wait_dscnt 0x9
	v_dual_add_f32 v66, v66, v122 :: v_dual_cndmask_b32 v21, -v21, v21, s1
	s_wait_dscnt 0x7
	v_dual_add_f32 v68, v68, v137 :: v_dual_add_f32 v19, v19, v138
	v_cndmask_b32_e64 v73, -v73, v73, s1
	ds_bpermute_b32 v122, v1, v77
	ds_bpermute_b32 v137, v1, v71
	;; [unrolled: 1-line block ×3, first 2 shown]
	s_wait_dscnt 0x8
	v_dual_add_f32 v23, v23, v134 :: v_dual_add_f32 v70, v70, v139
	v_dual_cndmask_b32 v30, -v30, v30, s1 :: v_dual_cndmask_b32 v76, -v76, v76, s1
	ds_bpermute_b32 v134, v1, v27
	ds_bpermute_b32 v139, v1, v79
	s_wait_dscnt 0x9
	v_dual_cndmask_b32 v40, -v40, v40, s1 :: v_dual_add_f32 v21, v21, v131
	s_wait_dscnt 0x7
	v_dual_add_f32 v73, v73, v132 :: v_dual_add_f32 v30, v30, v135
	s_wait_dscnt 0x6
	v_dual_add_f32 v76, v76, v136 :: v_dual_cndmask_b32 v77, -v77, v77, s1
	ds_bpermute_b32 v131, v1, v38
	ds_bpermute_b32 v132, v1, v80
	;; [unrolled: 1-line block ×4, first 2 shown]
	s_wait_dscnt 0x9
	v_dual_add_f32 v40, v40, v140 :: v_dual_cndmask_b32 v27, -v27, v27, s1
	v_dual_cndmask_b32 v71, -v71, v71, s1 :: v_dual_cndmask_b32 v29, -v29, v29, s1
	ds_bpermute_b32 v140, v1, v35
	s_wait_dscnt 0x9
	v_dual_cndmask_b32 v79, -v79, v79, s1 :: v_dual_add_f32 v77, v77, v122
	s_wait_dscnt 0x7
	v_dual_add_f32 v71, v71, v137 :: v_dual_add_f32 v29, v29, v138
	ds_bpermute_b32 v122, v1, v72
	ds_bpermute_b32 v137, v1, v88
	;; [unrolled: 1-line block ×3, first 2 shown]
	s_wait_dscnt 0x9
	v_dual_add_f32 v27, v27, v134 :: v_dual_cndmask_b32 v80, -v80, v80, s1
	s_wait_dscnt 0x8
	v_dual_add_f32 v79, v79, v139 :: v_dual_cndmask_b32 v38, -v38, v38, s1
	v_dual_cndmask_b32 v39, -v39, v39, s1 :: v_dual_cndmask_b32 v86, -v86, v86, s1
	ds_bpermute_b32 v134, v1, v56
	s_wait_dscnt 0x7
	v_dual_cndmask_b32 v35, -v35, v35, s1 :: v_dual_add_f32 v80, v80, v132
	v_add_f32_e32 v38, v38, v131
	s_wait_dscnt 0x5
	v_dual_add_f32 v39, v39, v135 :: v_dual_add_f32 v86, v86, v136
	ds_bpermute_b32 v131, v1, v47
	ds_bpermute_b32 v135, v1, v43
	;; [unrolled: 1-line block ×3, first 2 shown]
	s_wait_dscnt 0x7
	v_add_f32_e32 v35, v35, v140
	v_dual_cndmask_b32 v72, -v72, v72, s1 :: v_dual_cndmask_b32 v46, -v46, v46, s1
	v_cndmask_b32_e64 v88, -v88, v88, s1
	ds_bpermute_b32 v132, v1, v91
	ds_bpermute_b32 v140, v1, v45
	;; [unrolled: 1-line block ×3, first 2 shown]
	v_dual_cndmask_b32 v56, -v56, v56, s1 :: v_dual_cndmask_b32 v81, -v81, v81, s1
	s_wait_dscnt 0x9
	v_add_f32_e32 v72, v72, v122
	s_wait_dscnt 0x7
	v_dual_add_f32 v46, v46, v138 :: v_dual_add_f32 v88, v88, v137
	v_cndmask_b32_e64 v91, -v91, v91, s1
	ds_bpermute_b32 v122, v1, v87
	ds_bpermute_b32 v137, v1, v89
	s_wait_dscnt 0x8
	v_dual_add_f32 v56, v56, v134 :: v_dual_cndmask_b32 v47, -v47, v47, s1
	v_dual_cndmask_b32 v43, -v43, v43, s1 :: v_dual_cndmask_b32 v78, -v78, v78, s1
	ds_bpermute_b32 v134, v1, v54
	ds_bpermute_b32 v138, v1, v64
	s_wait_dscnt 0x9
	v_dual_cndmask_b32 v45, -v45, v45, s1 :: v_dual_add_f32 v47, v47, v131
	s_wait_dscnt 0x7
	v_dual_add_f32 v43, v43, v135 :: v_dual_add_f32 v78, v78, v136
	ds_bpermute_b32 v131, v1, v51
	ds_bpermute_b32 v136, v1, v93
	s_wait_dscnt 0x8
	v_dual_add_f32 v91, v91, v132 :: v_dual_cndmask_b32 v54, -v54, v54, s1
	s_wait_dscnt 0x7
	v_dual_add_f32 v45, v45, v140 :: v_dual_cndmask_b32 v87, -v87, v87, s1
	v_dual_cndmask_b32 v89, -v89, v89, s1 :: v_dual_cndmask_b32 v64, -v64, v64, s1
	ds_bpermute_b32 v132, v1, v92
	ds_bpermute_b32 v135, v1, v53
	s_wait_dscnt 0x8
	v_add_f32_e32 v81, v81, v139
	ds_bpermute_b32 v139, v1, v90
	s_wait_dscnt 0x7
	v_dual_cndmask_b32 v90, -v90, v90, s1 :: v_dual_add_f32 v89, v89, v137
	v_add_f32_e32 v87, v87, v122
	ds_bpermute_b32 v122, v1, v62
	s_wait_dscnt 0x7
	v_dual_add_f32 v54, v54, v134 :: v_dual_cndmask_b32 v51, -v51, v51, s1
	v_dual_cndmask_b32 v92, -v92, v92, s1 :: v_dual_cndmask_b32 v93, -v93, v93, s1
	s_wait_dscnt 0x6
	v_dual_add_f32 v64, v64, v138 :: v_dual_cndmask_b32 v53, -v53, v53, s1
	ds_bpermute_b32 v134, v1, v94
	s_wait_dscnt 0x5
	v_dual_add_f32 v51, v51, v131 :: v_dual_add_f32 v93, v93, v136
	v_cndmask_b32_e64 v94, -v94, v94, s1
	ds_bpermute_b32 v131, v1, v96
	ds_bpermute_b32 v136, v1, v74
	;; [unrolled: 1-line block ×3, first 2 shown]
	s_wait_dscnt 0x6
	v_dual_add_f32 v92, v92, v132 :: v_dual_add_f32 v53, v53, v135
	v_cndmask_b32_e64 v62, -v62, v62, s1
	ds_bpermute_b32 v132, v1, v84
	ds_bpermute_b32 v135, v1, v97
	;; [unrolled: 1-line block ×3, first 2 shown]
	v_dual_cndmask_b32 v96, -v96, v96, s1 :: v_dual_cndmask_b32 v97, -v97, v97, s1
	s_wait_dscnt 0x7
	v_add_f32_e32 v62, v62, v122
	ds_bpermute_b32 v122, v1, v75
	v_dual_cndmask_b32 v84, -v84, v84, s1 :: v_dual_cndmask_b32 v74, -v74, v74, s1
	v_add_f32_e32 v90, v90, v139
	ds_bpermute_b32 v138, v1, v101
	ds_bpermute_b32 v139, v1, v59
	v_dual_cndmask_b32 v63, -v63, v63, s1 :: v_dual_cndmask_b32 v101, -v101, v101, s1
	s_wait_dscnt 0x9
	v_add_f32_e32 v94, v94, v134
	ds_bpermute_b32 v134, v1, v110
	s_wait_dscnt 0x9
	v_dual_cndmask_b32 v98, -v98, v98, s1 :: v_dual_add_f32 v96, v96, v131
	s_wait_dscnt 0x8
	v_dual_add_f32 v74, v74, v136 :: v_dual_bitop2_b32 v131, 2, v2 bitop3:0x14
	s_wait_dscnt 0x6
	v_dual_add_f32 v63, v63, v137 :: v_dual_add_f32 v84, v84, v132
	s_wait_dscnt 0x5
	v_add_f32_e32 v97, v97, v135
	v_dual_cndmask_b32 v75, -v75, v75, s1 :: v_dual_cndmask_b32 v110, -v110, v110, s1
	ds_bpermute_b32 v132, v1, v67
	ds_bpermute_b32 v135, v1, v99
	;; [unrolled: 1-line block ×4, first 2 shown]
	v_cmp_gt_i32_e64 s33, 32, v131
	s_wait_dscnt 0x7
	v_dual_add_f32 v98, v98, v140 :: v_dual_add_f32 v75, v75, v122
	v_dual_cndmask_b32 v59, -v59, v59, s1 :: v_dual_cndmask_b32 v69, -v69, v69, s1
	s_delay_alu instid0(VALU_DEP_3)
	v_cndmask_b32_e64 v122, v2, v131, s33
	ds_bpermute_b32 v131, v1, v82
	s_wait_dscnt 0x7
	v_dual_cndmask_b32 v99, -v99, v99, s1 :: v_dual_add_f32 v101, v101, v138
	s_wait_dscnt 0x6
	v_dual_add_f32 v59, v59, v139 :: v_dual_lshlrev_b32 v122, 2, v122
	s_wait_dscnt 0x5
	v_dual_add_f32 v110, v110, v134 :: v_dual_cndmask_b32 v67, -v67, v67, s1
	v_dual_cndmask_b32 v102, -v102, v102, s1 :: v_dual_bitop2_b32 v138, 2, v0 bitop3:0x40
	ds_bpermute_b32 v134, v1, v103
	ds_bpermute_b32 v139, v122, v95
	;; [unrolled: 1-line block ×4, first 2 shown]
	s_wait_dscnt 0x5
	v_dual_add_f32 v67, v67, v132 :: v_dual_add_f32 v102, v102, v137
	v_dual_add_f32 v99, v99, v135 :: v_dual_add_f32 v69, v69, v136
	v_cmp_eq_u32_e64 s33, 0, v138
	v_dual_cndmask_b32 v82, -v82, v82, s1 :: v_dual_cndmask_b32 v103, -v103, v103, s1
	ds_bpermute_b32 v132, v122, v6
	ds_bpermute_b32 v135, v122, v104
	;; [unrolled: 1-line block ×5, first 2 shown]
	s_wait_dscnt 0x9
	v_add_f32_e32 v82, v82, v131
	ds_bpermute_b32 v131, v122, v106
	v_dual_cndmask_b32 v95, -v95, v95, s33 :: v_dual_cndmask_b32 v100, -v100, v100, s33
	v_cndmask_b32_e64 v83, -v83, v83, s33
	s_wait_dscnt 0x9
	v_add_f32_e32 v103, v103, v134
	s_wait_dscnt 0x8
	v_dual_cndmask_b32 v6, -v6, v6, s33 :: v_dual_add_f32 v95, v95, v139
	s_wait_dscnt 0x6
	v_dual_add_f32 v100, v100, v141 :: v_dual_add_f32 v83, v83, v140
	v_dual_cndmask_b32 v105, -v105, v105, s33 :: v_dual_cndmask_b32 v104, -v104, v104, s33
	v_dual_cndmask_b32 v85, -v85, v85, s33 :: v_dual_cndmask_b32 v8, -v8, v8, s33
	ds_bpermute_b32 v134, v122, v107
	ds_bpermute_b32 v139, v122, v108
	;; [unrolled: 1-line block ×4, first 2 shown]
	s_wait_dscnt 0x8
	v_dual_add_f32 v6, v6, v132 :: v_dual_add_f32 v104, v104, v135
	s_wait_dscnt 0x6
	v_dual_add_f32 v105, v105, v137 :: v_dual_add_f32 v8, v8, v136
	s_wait_dscnt 0x5
	v_add_f32_e32 v85, v85, v138
	v_dual_cndmask_b32 v106, -v106, v106, s33 :: v_dual_cndmask_b32 v107, -v107, v107, s33
	ds_bpermute_b32 v132, v122, v9
	ds_bpermute_b32 v135, v122, v111
	;; [unrolled: 1-line block ×5, first 2 shown]
	s_wait_dscnt 0x9
	v_dual_cndmask_b32 v109, -v109, v109, s33 :: v_dual_add_f32 v106, v106, v131
	ds_bpermute_b32 v131, v122, v113
	v_dual_cndmask_b32 v108, -v108, v108, s33 :: v_dual_cndmask_b32 v5, -v5, v5, s33
	s_wait_dscnt 0x9
	v_dual_add_f32 v107, v107, v134 :: v_dual_cndmask_b32 v9, -v9, v9, s33
	v_cndmask_b32_e64 v112, -v112, v112, s33
	s_wait_dscnt 0x7
	v_dual_add_f32 v108, v108, v139 :: v_dual_add_f32 v5, v5, v140
	s_wait_dscnt 0x6
	v_dual_cndmask_b32 v111, -v111, v111, s33 :: v_dual_add_f32 v109, v109, v141
	v_dual_cndmask_b32 v10, -v10, v10, s33 :: v_dual_cndmask_b32 v12, -v12, v12, s33
	ds_bpermute_b32 v134, v122, v13
	ds_bpermute_b32 v139, v122, v114
	ds_bpermute_b32 v140, v122, v17
	ds_bpermute_b32 v141, v122, v115
	s_wait_dscnt 0x6
	v_dual_add_f32 v9, v9, v132 :: v_dual_add_f32 v112, v112, v137
	v_dual_add_f32 v111, v111, v135 :: v_dual_add_f32 v10, v10, v136
	s_wait_dscnt 0x5
	v_dual_add_f32 v12, v12, v138 :: v_dual_cndmask_b32 v113, -v113, v113, s33
	v_cndmask_b32_e64 v114, -v114, v114, s33
	ds_bpermute_b32 v132, v122, v18
	ds_bpermute_b32 v135, v122, v116
	;; [unrolled: 1-line block ×5, first 2 shown]
	v_dual_cndmask_b32 v13, -v13, v13, s33 :: v_dual_cndmask_b32 v115, -v115, v115, s33
	s_wait_dscnt 0x9
	v_add_f32_e32 v113, v113, v131
	ds_bpermute_b32 v131, v122, v118
	s_wait_dscnt 0x8
	v_dual_cndmask_b32 v17, -v17, v17, s33 :: v_dual_add_f32 v114, v114, v139
	v_dual_add_f32 v13, v13, v134 :: v_dual_cndmask_b32 v116, -v116, v116, s33
	s_wait_dscnt 0x7
	s_delay_alu instid0(VALU_DEP_2)
	v_dual_cndmask_b32 v18, -v18, v18, s33 :: v_dual_add_f32 v17, v17, v140
	v_dual_cndmask_b32 v20, -v20, v20, s33 :: v_dual_cndmask_b32 v117, -v117, v117, s33
	s_wait_dscnt 0x6
	v_dual_cndmask_b32 v24, -v24, v24, s33 :: v_dual_add_f32 v115, v115, v141
	ds_bpermute_b32 v134, v122, v25
	ds_bpermute_b32 v139, v122, v119
	;; [unrolled: 1-line block ×4, first 2 shown]
	s_wait_dscnt 0x8
	v_dual_add_f32 v18, v18, v132 :: v_dual_add_f32 v116, v116, v135
	s_wait_dscnt 0x7
	v_dual_add_f32 v20, v20, v136 :: v_dual_cndmask_b32 v118, -v118, v118, s33
	s_wait_dscnt 0x5
	v_dual_add_f32 v117, v117, v137 :: v_dual_add_f32 v24, v24, v138
	v_cndmask_b32_e64 v25, -v25, v25, s33
	ds_bpermute_b32 v132, v122, v28
	ds_bpermute_b32 v135, v122, v121
	;; [unrolled: 1-line block ×4, first 2 shown]
	s_wait_dscnt 0x8
	v_dual_cndmask_b32 v120, -v120, v120, s33 :: v_dual_add_f32 v118, v118, v131
	ds_bpermute_b32 v136, v122, v31
	ds_bpermute_b32 v131, v122, v124
	v_dual_cndmask_b32 v119, -v119, v119, s33 :: v_dual_cndmask_b32 v26, -v26, v26, s33
	v_dual_cndmask_b32 v28, -v28, v28, s33 :: v_dual_cndmask_b32 v121, -v121, v121, s33
	;; [unrolled: 1-line block ×3, first 2 shown]
	s_wait_dscnt 0x9
	v_dual_cndmask_b32 v123, -v123, v123, s33 :: v_dual_add_f32 v25, v25, v134
	s_wait_dscnt 0x7
	v_dual_add_f32 v119, v119, v139 :: v_dual_add_f32 v26, v26, v140
	s_wait_dscnt 0x6
	v_add_f32_e32 v120, v120, v141
	ds_bpermute_b32 v134, v122, v34
	ds_bpermute_b32 v139, v122, v125
	;; [unrolled: 1-line block ×4, first 2 shown]
	s_wait_dscnt 0x8
	v_dual_add_f32 v28, v28, v132 :: v_dual_add_f32 v121, v121, v135
	s_wait_dscnt 0x6
	v_dual_add_f32 v132, v123, v137 :: v_dual_add_f32 v33, v33, v138
	v_dual_cndmask_b32 v123, -v124, v124, s33 :: v_dual_cndmask_b32 v34, -v34, v34, s33
	v_dual_cndmask_b32 v124, -v125, v125, s33 :: v_dual_cndmask_b32 v36, -v36, v36, s33
	s_wait_dscnt 0x4
	s_delay_alu instid0(VALU_DEP_2)
	v_dual_cndmask_b32 v125, -v128, v128, s33 :: v_dual_add_f32 v131, v123, v131
	ds_bpermute_b32 v128, v122, v37
	ds_bpermute_b32 v135, v122, v126
	;; [unrolled: 1-line block ×4, first 2 shown]
	v_add_f32_e32 v31, v31, v136
	ds_bpermute_b32 v136, v122, v41
	v_dual_cndmask_b32 v37, -v37, v37, s33 :: v_dual_cndmask_b32 v123, -v126, v126, s33
	v_dual_cndmask_b32 v41, -v41, v41, s33 :: v_dual_cndmask_b32 v126, -v127, v127, s33
	ds_bpermute_b32 v127, v122, v129
	v_cndmask_b32_e64 v42, -v42, v42, s33
	s_wait_dscnt 0x8
	v_dual_add_f32 v34, v34, v134 :: v_dual_add_f32 v124, v124, v139
	s_wait_dscnt 0x6
	v_dual_add_f32 v36, v36, v140 :: v_dual_add_f32 v125, v125, v141
	ds_bpermute_b32 v134, v122, v44
	ds_bpermute_b32 v139, v122, v130
	;; [unrolled: 1-line block ×4, first 2 shown]
	s_wait_dscnt 0x8
	v_dual_add_f32 v37, v37, v128 :: v_dual_add_f32 v128, v123, v135
	s_wait_dscnt 0x7
	v_dual_add_f32 v126, v126, v137 :: v_dual_cndmask_b32 v44, -v44, v44, s33
	s_wait_dscnt 0x6
	v_dual_add_f32 v42, v42, v138 :: v_dual_cndmask_b32 v123, -v129, v129, s33
	v_dual_cndmask_b32 v129, -v130, v130, s33 :: v_dual_cndmask_b32 v48, -v48, v48, s33
	v_cndmask_b32_e64 v130, -v133, v133, s33
	ds_bpermute_b32 v133, v122, v49
	ds_bpermute_b32 v135, v122, v7
	;; [unrolled: 1-line block ×3, first 2 shown]
	s_wait_dscnt 0x8
	v_add_f32_e32 v41, v41, v136
	ds_bpermute_b32 v136, v122, v50
	ds_bpermute_b32 v138, v122, v52
	s_wait_dscnt 0x9
	v_add_f32_e32 v127, v123, v127
	ds_bpermute_b32 v123, v122, v3
	v_dual_cndmask_b32 v49, -v49, v49, s33 :: v_dual_cndmask_b32 v7, -v7, v7, s33
	v_dual_cndmask_b32 v50, -v50, v50, s33 :: v_dual_cndmask_b32 v16, -v16, v16, s33
	s_wait_dscnt 0x8
	v_dual_add_f32 v44, v44, v134 :: v_dual_add_f32 v129, v129, v139
	s_wait_dscnt 0x6
	v_dual_add_f32 v48, v48, v140 :: v_dual_add_f32 v130, v130, v141
	v_cndmask_b32_e64 v52, -v52, v52, s33
	ds_bpermute_b32 v134, v122, v55
	ds_bpermute_b32 v139, v122, v4
	;; [unrolled: 1-line block ×4, first 2 shown]
	s_wait_dscnt 0x8
	v_dual_add_f32 v49, v49, v133 :: v_dual_add_f32 v7, v7, v135
	s_wait_dscnt 0x7
	v_dual_add_f32 v16, v16, v137 :: v_dual_cndmask_b32 v3, -v3, v3, s33
	ds_bpermute_b32 v133, v122, v58
	ds_bpermute_b32 v135, v122, v15
	;; [unrolled: 1-line block ×3, first 2 shown]
	s_wait_dscnt 0x8
	v_dual_add_f32 v50, v50, v136 :: v_dual_add_f32 v52, v52, v138
	v_dual_cndmask_b32 v55, -v55, v55, s33 :: v_dual_cndmask_b32 v14, -v14, v14, s33
	s_wait_dscnt 0x7
	v_add_f32_e32 v3, v3, v123
	ds_bpermute_b32 v136, v122, v60
	ds_bpermute_b32 v138, v122, v61
	;; [unrolled: 1-line block ×3, first 2 shown]
	v_dual_cndmask_b32 v4, -v4, v4, s33 :: v_dual_cndmask_b32 v57, -v57, v57, s33
	v_dual_cndmask_b32 v58, -v58, v58, s33 :: v_dual_cndmask_b32 v15, -v15, v15, s33
	;; [unrolled: 1-line block ×3, first 2 shown]
	s_wait_dscnt 0x8
	s_delay_alu instid0(VALU_DEP_3)
	v_dual_add_f32 v55, v55, v134 :: v_dual_add_f32 v4, v4, v139
	s_wait_dscnt 0x6
	v_dual_add_f32 v57, v57, v140 :: v_dual_add_f32 v14, v14, v141
	s_wait_dscnt 0x4
	v_dual_cndmask_b32 v61, -v61, v61, s33 :: v_dual_add_f32 v15, v15, v135
	ds_bpermute_b32 v134, v122, v65
	ds_bpermute_b32 v139, v122, v22
	;; [unrolled: 1-line block ×4, first 2 shown]
	s_wait_dscnt 0x6
	v_dual_add_f32 v58, v58, v133 :: v_dual_add_f32 v60, v60, v136
	s_wait_dscnt 0x5
	v_dual_add_f32 v11, v11, v137 :: v_dual_add_f32 v61, v61, v138
	v_dual_cndmask_b32 v32, -v32, v32, s33 :: v_dual_cndmask_b32 v65, -v65, v65, s33
	ds_bpermute_b32 v133, v122, v68
	ds_bpermute_b32 v137, v122, v21
	s_wait_dscnt 0x6
	v_dual_cndmask_b32 v66, -v66, v66, s33 :: v_dual_add_f32 v32, v32, v123
	ds_bpermute_b32 v135, v122, v19
	ds_bpermute_b32 v136, v122, v70
	;; [unrolled: 1-line block ×4, first 2 shown]
	v_dual_cndmask_b32 v22, -v22, v22, s33 :: v_dual_cndmask_b32 v23, -v23, v23, s33
	v_dual_cndmask_b32 v68, -v68, v68, s33 :: v_dual_cndmask_b32 v19, -v19, v19, s33
	;; [unrolled: 1-line block ×3, first 2 shown]
	s_wait_dscnt 0x8
	s_delay_alu instid0(VALU_DEP_3)
	v_dual_add_f32 v65, v65, v134 :: v_dual_add_f32 v22, v22, v139
	s_wait_dscnt 0x6
	v_dual_add_f32 v66, v66, v140 :: v_dual_add_f32 v23, v23, v141
	v_cndmask_b32_e64 v73, -v73, v73, s33
	ds_bpermute_b32 v134, v122, v76
	ds_bpermute_b32 v139, v122, v40
	;; [unrolled: 1-line block ×4, first 2 shown]
	s_wait_dscnt 0x9
	v_add_f32_e32 v68, v68, v133
	s_wait_dscnt 0x8
	v_dual_add_f32 v21, v21, v137 :: v_dual_cndmask_b32 v30, -v30, v30, s33
	ds_bpermute_b32 v133, v122, v71
	s_wait_dscnt 0x7
	v_dual_add_f32 v19, v19, v135 :: v_dual_add_f32 v70, v70, v136
	s_wait_dscnt 0x6
	v_dual_add_f32 v73, v73, v138 :: v_dual_cndmask_b32 v76, -v76, v76, s33
	v_dual_cndmask_b32 v40, -v40, v40, s33 :: v_dual_cndmask_b32 v77, -v77, v77, s33
	ds_bpermute_b32 v135, v122, v29
	ds_bpermute_b32 v136, v122, v79
	;; [unrolled: 1-line block ×4, first 2 shown]
	s_wait_dscnt 0x9
	v_add_f32_e32 v30, v30, v123
	ds_bpermute_b32 v123, v122, v39
	s_wait_dscnt 0x9
	v_dual_cndmask_b32 v27, -v27, v27, s33 :: v_dual_add_f32 v76, v76, v134
	v_dual_cndmask_b32 v71, -v71, v71, s33 :: v_dual_cndmask_b32 v29, -v29, v29, s33
	s_wait_dscnt 0x6
	s_delay_alu instid0(VALU_DEP_2)
	v_dual_add_f32 v40, v40, v139 :: v_dual_add_f32 v27, v27, v141
	v_dual_add_f32 v77, v77, v140 :: v_dual_cndmask_b32 v79, -v79, v79, s33
	v_dual_cndmask_b32 v38, -v38, v38, s33 :: v_dual_cndmask_b32 v80, -v80, v80, s33
	s_wait_dscnt 0x5
	v_add_f32_e32 v71, v71, v133
	ds_bpermute_b32 v134, v122, v86
	ds_bpermute_b32 v139, v122, v35
	;; [unrolled: 1-line block ×4, first 2 shown]
	v_dual_cndmask_b32 v39, -v39, v39, s33 :: v_dual_cndmask_b32 v86, -v86, v86, s33
	ds_bpermute_b32 v133, v122, v88
	s_wait_dscnt 0x8
	v_dual_add_f32 v29, v29, v135 :: v_dual_add_f32 v79, v79, v136
	s_wait_dscnt 0x6
	v_dual_add_f32 v38, v38, v137 :: v_dual_add_f32 v80, v80, v138
	s_wait_dscnt 0x5
	v_dual_cndmask_b32 v56, -v56, v56, s33 :: v_dual_add_f32 v39, v39, v123
	ds_bpermute_b32 v135, v122, v46
	ds_bpermute_b32 v136, v122, v81
	;; [unrolled: 1-line block ×5, first 2 shown]
	v_dual_cndmask_b32 v35, -v35, v35, s33 :: v_dual_cndmask_b32 v72, -v72, v72, s33
	v_dual_cndmask_b32 v88, -v88, v88, s33 :: v_dual_cndmask_b32 v81, -v81, v81, s33
	s_wait_dscnt 0x8
	s_delay_alu instid0(VALU_DEP_2)
	v_dual_add_f32 v86, v86, v134 :: v_dual_add_f32 v35, v35, v139
	s_wait_dscnt 0x7
	v_dual_add_f32 v72, v72, v140 :: v_dual_cndmask_b32 v46, -v46, v46, s33
	s_wait_dscnt 0x6
	v_dual_add_f32 v56, v56, v141 :: v_dual_cndmask_b32 v47, -v47, v47, s33
	s_wait_dscnt 0x5
	v_dual_cndmask_b32 v91, -v91, v91, s33 :: v_dual_add_f32 v88, v88, v133
	ds_bpermute_b32 v134, v122, v78
	ds_bpermute_b32 v139, v122, v45
	v_cndmask_b32_e64 v43, -v43, v43, s33
	ds_bpermute_b32 v133, v122, v89
	ds_bpermute_b32 v140, v122, v87
	ds_bpermute_b32 v141, v122, v54
	s_wait_dscnt 0x8
	v_dual_add_f32 v46, v46, v135 :: v_dual_add_f32 v81, v81, v136
	s_wait_dscnt 0x7
	v_dual_add_f32 v47, v47, v137 :: v_dual_cndmask_b32 v78, -v78, v78, s33
	s_wait_dscnt 0x6
	v_dual_add_f32 v91, v91, v138 :: v_dual_cndmask_b32 v45, -v45, v45, s33
	v_cndmask_b32_e64 v54, -v54, v54, s33
	ds_bpermute_b32 v135, v122, v64
	ds_bpermute_b32 v136, v122, v90
	;; [unrolled: 1-line block ×4, first 2 shown]
	s_wait_dscnt 0x9
	v_add_f32_e32 v43, v43, v123
	ds_bpermute_b32 v123, v122, v53
	v_dual_cndmask_b32 v89, -v89, v89, s33 :: v_dual_cndmask_b32 v64, -v64, v64, s33
	s_wait_dscnt 0x9
	v_dual_cndmask_b32 v87, -v87, v87, s33 :: v_dual_add_f32 v78, v78, v134
	s_wait_dscnt 0x8
	v_dual_add_f32 v45, v45, v139 :: v_dual_cndmask_b32 v90, -v90, v90, s33
	v_dual_cndmask_b32 v51, -v51, v51, s33 :: v_dual_cndmask_b32 v92, -v92, v92, s33
	s_wait_dscnt 0x7
	v_add_f32_e32 v89, v89, v133
	ds_bpermute_b32 v134, v122, v93
	ds_bpermute_b32 v139, v122, v62
	v_dual_cndmask_b32 v53, -v53, v53, s33 :: v_dual_cndmask_b32 v62, -v62, v62, s33
	ds_bpermute_b32 v133, v122, v101
	s_wait_dscnt 0x9
	v_add_f32_e32 v87, v87, v140
	ds_bpermute_b32 v140, v122, v94
	s_wait_dscnt 0x7
	v_dual_add_f32 v64, v64, v135 :: v_dual_add_f32 v90, v90, v136
	s_wait_dscnt 0x5
	v_dual_add_f32 v51, v51, v137 :: v_dual_add_f32 v92, v92, v138
	v_dual_cndmask_b32 v93, -v93, v93, s33 :: v_dual_cndmask_b32 v94, -v94, v94, s33
	ds_bpermute_b32 v135, v122, v59
	ds_bpermute_b32 v136, v122, v96
	;; [unrolled: 1-line block ×4, first 2 shown]
	s_wait_dscnt 0x8
	v_add_f32_e32 v53, v53, v123
	ds_bpermute_b32 v123, v122, v74
	v_dual_cndmask_b32 v101, -v101, v101, s33 :: v_dual_cndmask_b32 v59, -v59, v59, s33
	v_add_f32_e32 v54, v54, v141
	ds_bpermute_b32 v141, v122, v63
	s_wait_dscnt 0x9
	v_dual_cndmask_b32 v63, -v63, v63, s33 :: v_dual_add_f32 v93, v93, v134
	s_wait_dscnt 0x8
	v_add_f32_e32 v62, v62, v139
	ds_bpermute_b32 v134, v122, v98
	ds_bpermute_b32 v139, v122, v75
	v_dual_cndmask_b32 v96, -v96, v96, s33 :: v_dual_cndmask_b32 v97, -v97, v97, s33
	s_wait_dscnt 0x9
	v_dual_cndmask_b32 v84, -v84, v84, s33 :: v_dual_add_f32 v101, v101, v133
	v_dual_cndmask_b32 v74, -v74, v74, s33 :: v_dual_cndmask_b32 v75, -v75, v75, s33
	s_wait_dscnt 0x7
	v_dual_add_f32 v59, v59, v135 :: v_dual_bitop2_b32 v133, 4, v2 bitop3:0x14
	s_wait_dscnt 0x6
	v_add_f32_e32 v96, v96, v136
	s_wait_dscnt 0x4
	v_dual_add_f32 v84, v84, v137 :: v_dual_add_f32 v97, v97, v138
	ds_bpermute_b32 v135, v122, v110
	ds_bpermute_b32 v136, v122, v67
	;; [unrolled: 1-line block ×4, first 2 shown]
	s_wait_dscnt 0x7
	v_add_f32_e32 v74, v74, v123
	v_cmp_gt_i32_e64 s34, 32, v133
	v_dual_cndmask_b32 v98, -v98, v98, s33 :: v_dual_cndmask_b32 v99, -v99, v99, s33
	s_wait_dscnt 0x6
	v_dual_add_f32 v94, v94, v140 :: v_dual_add_f32 v63, v63, v141
	s_delay_alu instid0(VALU_DEP_3)
	v_cndmask_b32_e64 v123, v2, v133, s34
	ds_bpermute_b32 v133, v122, v102
	s_wait_dscnt 0x5
	v_dual_add_f32 v75, v75, v139 :: v_dual_add_f32 v98, v98, v134
	v_cndmask_b32_e64 v67, -v67, v67, s33
	v_dual_lshlrev_b32 v123, 2, v123 :: v_dual_bitop2_b32 v140, 4, v0 bitop3:0x40
	v_dual_cndmask_b32 v110, -v110, v110, s33 :: v_dual_cndmask_b32 v69, -v69, v69, s33
	ds_bpermute_b32 v134, v122, v82
	ds_bpermute_b32 v139, v122, v103
	;; [unrolled: 1-line block ×4, first 2 shown]
	s_wait_dscnt 0x7
	v_dual_add_f32 v110, v110, v135 :: v_dual_add_f32 v67, v67, v136
	s_wait_dscnt 0x5
	v_dual_add_f32 v99, v99, v137 :: v_dual_add_f32 v69, v69, v138
	v_cmp_eq_u32_e64 s34, 0, v140
	ds_bpermute_b32 v135, v123, v100
	ds_bpermute_b32 v136, v123, v6
	;; [unrolled: 1-line block ×5, first 2 shown]
	v_dual_cndmask_b32 v102, -v102, v102, s33 :: v_dual_cndmask_b32 v103, -v103, v103, s33
	v_dual_cndmask_b32 v82, -v82, v82, s33 :: v_dual_cndmask_b32 v95, -v95, v95, s34
	s_wait_dscnt 0x9
	s_delay_alu instid0(VALU_DEP_2)
	v_dual_cndmask_b32 v83, -v83, v83, s34 :: v_dual_add_f32 v102, v102, v133
	ds_bpermute_b32 v133, v123, v85
	s_wait_dscnt 0x8
	v_dual_add_f32 v82, v82, v134 :: v_dual_add_f32 v103, v103, v139
	s_wait_dscnt 0x7
	v_dual_add_f32 v95, v95, v141 :: v_dual_cndmask_b32 v100, -v100, v100, s34
	s_wait_dscnt 0x6
	v_dual_add_f32 v83, v83, v142 :: v_dual_cndmask_b32 v104, -v104, v104, s34
	v_dual_cndmask_b32 v6, -v6, v6, s34 :: v_dual_cndmask_b32 v8, -v8, v8, s34
	s_wait_dscnt 0x5
	v_dual_cndmask_b32 v105, -v105, v105, s34 :: v_dual_add_f32 v100, v100, v135
	ds_bpermute_b32 v134, v123, v106
	ds_bpermute_b32 v139, v123, v107
	;; [unrolled: 1-line block ×4, first 2 shown]
	s_wait_dscnt 0x7
	v_dual_add_f32 v6, v6, v136 :: v_dual_add_f32 v104, v104, v137
	s_wait_dscnt 0x5
	v_dual_add_f32 v8, v8, v138 :: v_dual_add_f32 v105, v105, v140
	ds_bpermute_b32 v135, v123, v109
	ds_bpermute_b32 v136, v123, v9
	;; [unrolled: 1-line block ×5, first 2 shown]
	v_dual_cndmask_b32 v85, -v85, v85, s34 :: v_dual_cndmask_b32 v106, -v106, v106, s34
	v_dual_cndmask_b32 v107, -v107, v107, s34 :: v_dual_cndmask_b32 v108, -v108, v108, s34
	v_cndmask_b32_e64 v5, -v5, v5, s34
	s_wait_dscnt 0x9
	s_delay_alu instid0(VALU_DEP_3)
	v_add_f32_e32 v85, v85, v133
	ds_bpermute_b32 v133, v123, v12
	s_wait_dscnt 0x8
	v_dual_add_f32 v106, v106, v134 :: v_dual_add_f32 v107, v107, v139
	s_wait_dscnt 0x6
	v_dual_add_f32 v108, v108, v141 :: v_dual_add_f32 v5, v5, v142
	v_dual_cndmask_b32 v109, -v109, v109, s34 :: v_dual_cndmask_b32 v111, -v111, v111, s34
	v_dual_cndmask_b32 v9, -v9, v9, s34 :: v_dual_cndmask_b32 v10, -v10, v10, s34
	s_wait_dscnt 0x5
	s_delay_alu instid0(VALU_DEP_2)
	v_dual_cndmask_b32 v112, -v112, v112, s34 :: v_dual_add_f32 v109, v109, v135
	ds_bpermute_b32 v134, v123, v113
	ds_bpermute_b32 v139, v123, v13
	;; [unrolled: 1-line block ×4, first 2 shown]
	s_wait_dscnt 0x7
	v_dual_add_f32 v9, v9, v136 :: v_dual_add_f32 v111, v111, v137
	s_wait_dscnt 0x5
	v_dual_add_f32 v10, v10, v138 :: v_dual_add_f32 v112, v112, v140
	ds_bpermute_b32 v135, v123, v115
	ds_bpermute_b32 v136, v123, v18
	;; [unrolled: 1-line block ×5, first 2 shown]
	v_dual_cndmask_b32 v12, -v12, v12, s34 :: v_dual_cndmask_b32 v113, -v113, v113, s34
	v_dual_cndmask_b32 v13, -v13, v13, s34 :: v_dual_cndmask_b32 v114, -v114, v114, s34
	;; [unrolled: 1-line block ×3, first 2 shown]
	s_wait_dscnt 0x8
	s_delay_alu instid0(VALU_DEP_3)
	v_dual_add_f32 v12, v12, v133 :: v_dual_add_f32 v113, v113, v134
	ds_bpermute_b32 v133, v123, v24
	s_wait_dscnt 0x7
	v_dual_add_f32 v13, v13, v139 :: v_dual_add_f32 v114, v114, v141
	s_wait_dscnt 0x6
	v_dual_add_f32 v17, v17, v142 :: v_dual_cndmask_b32 v116, -v116, v116, s34
	v_dual_cndmask_b32 v18, -v18, v18, s34 :: v_dual_cndmask_b32 v20, -v20, v20, s34
	s_wait_dscnt 0x5
	v_dual_cndmask_b32 v117, -v117, v117, s34 :: v_dual_add_f32 v115, v115, v135
	ds_bpermute_b32 v134, v123, v118
	ds_bpermute_b32 v139, v123, v25
	;; [unrolled: 1-line block ×4, first 2 shown]
	s_wait_dscnt 0x7
	v_dual_add_f32 v18, v18, v136 :: v_dual_add_f32 v116, v116, v137
	s_wait_dscnt 0x5
	v_dual_add_f32 v20, v20, v138 :: v_dual_add_f32 v117, v117, v140
	ds_bpermute_b32 v135, v123, v120
	ds_bpermute_b32 v136, v123, v28
	;; [unrolled: 1-line block ×5, first 2 shown]
	v_dual_cndmask_b32 v24, -v24, v24, s34 :: v_dual_cndmask_b32 v118, -v118, v118, s34
	v_dual_cndmask_b32 v25, -v25, v25, s34 :: v_dual_cndmask_b32 v119, -v119, v119, s34
	s_wait_dscnt 0x9
	s_delay_alu instid0(VALU_DEP_2)
	v_dual_cndmask_b32 v26, -v26, v26, s34 :: v_dual_add_f32 v24, v24, v133
	ds_bpermute_b32 v133, v123, v33
	s_wait_dscnt 0x8
	v_dual_add_f32 v118, v118, v134 :: v_dual_add_f32 v25, v25, v139
	s_wait_dscnt 0x6
	v_dual_add_f32 v119, v119, v141 :: v_dual_add_f32 v26, v26, v142
	v_dual_cndmask_b32 v120, -v120, v120, s34 :: v_dual_cndmask_b32 v121, -v121, v121, s34
	v_dual_cndmask_b32 v28, -v28, v28, s34 :: v_dual_cndmask_b32 v31, -v31, v31, s34
	v_cndmask_b32_e64 v132, -v132, v132, s34
	ds_bpermute_b32 v134, v123, v131
	ds_bpermute_b32 v139, v123, v34
	;; [unrolled: 1-line block ×4, first 2 shown]
	s_wait_dscnt 0x6
	v_dual_add_f32 v120, v120, v135 :: v_dual_add_f32 v31, v31, v138
	v_dual_add_f32 v28, v28, v136 :: v_dual_cndmask_b32 v33, -v33, v33, s34
	s_wait_dscnt 0x5
	v_dual_add_f32 v121, v121, v137 :: v_dual_add_f32 v132, v132, v140
	v_cndmask_b32_e64 v131, -v131, v131, s34
	ds_bpermute_b32 v135, v123, v125
	ds_bpermute_b32 v136, v123, v37
	;; [unrolled: 1-line block ×5, first 2 shown]
	v_dual_cndmask_b32 v34, -v34, v34, s34 :: v_dual_cndmask_b32 v124, -v124, v124, s34
	s_wait_dscnt 0x9
	v_dual_cndmask_b32 v36, -v36, v36, s34 :: v_dual_add_f32 v33, v33, v133
	ds_bpermute_b32 v133, v123, v42
	s_wait_dscnt 0x8
	v_dual_add_f32 v131, v131, v134 :: v_dual_add_f32 v34, v34, v139
	s_wait_dscnt 0x7
	v_dual_add_f32 v124, v124, v141 :: v_dual_cndmask_b32 v126, -v126, v126, s34
	s_wait_dscnt 0x6
	v_dual_add_f32 v36, v36, v142 :: v_dual_cndmask_b32 v125, -v125, v125, s34
	v_dual_cndmask_b32 v37, -v37, v37, s34 :: v_dual_cndmask_b32 v128, -v128, v128, s34
	v_cndmask_b32_e64 v41, -v41, v41, s34
	ds_bpermute_b32 v134, v123, v127
	ds_bpermute_b32 v139, v123, v44
	ds_bpermute_b32 v141, v123, v129
	ds_bpermute_b32 v142, v123, v48
	s_wait_dscnt 0x7
	v_dual_add_f32 v125, v125, v135 :: v_dual_add_f32 v128, v128, v137
	v_dual_add_f32 v37, v37, v136 :: v_dual_cndmask_b32 v42, -v42, v42, s34
	s_wait_dscnt 0x5
	v_dual_add_f32 v126, v126, v140 :: v_dual_add_f32 v41, v41, v138
	v_cndmask_b32_e64 v127, -v127, v127, s34
	ds_bpermute_b32 v135, v123, v130
	ds_bpermute_b32 v136, v123, v49
	;; [unrolled: 1-line block ×5, first 2 shown]
	v_dual_cndmask_b32 v44, -v44, v44, s34 :: v_dual_cndmask_b32 v129, -v129, v129, s34
	s_wait_dscnt 0x9
	v_dual_cndmask_b32 v48, -v48, v48, s34 :: v_dual_add_f32 v42, v42, v133
	ds_bpermute_b32 v133, v123, v52
	s_wait_dscnt 0x8
	v_dual_add_f32 v127, v127, v134 :: v_dual_add_f32 v44, v44, v139
	s_wait_dscnt 0x6
	v_dual_add_f32 v129, v129, v141 :: v_dual_add_f32 v48, v48, v142
	v_dual_cndmask_b32 v130, -v130, v130, s34 :: v_dual_cndmask_b32 v49, -v49, v49, s34
	v_dual_cndmask_b32 v7, -v7, v7, s34 :: v_dual_cndmask_b32 v50, -v50, v50, s34
	v_cndmask_b32_e64 v16, -v16, v16, s34
	ds_bpermute_b32 v134, v123, v3
	ds_bpermute_b32 v139, v123, v55
	;; [unrolled: 1-line block ×4, first 2 shown]
	s_wait_dscnt 0x8
	v_dual_add_f32 v130, v130, v135 :: v_dual_add_f32 v49, v49, v136
	s_wait_dscnt 0x6
	v_dual_add_f32 v7, v7, v137 :: v_dual_add_f32 v50, v50, v138
	s_wait_dscnt 0x5
	v_add_f32_e32 v16, v16, v140
	ds_bpermute_b32 v135, v123, v14
	ds_bpermute_b32 v136, v123, v58
	;; [unrolled: 1-line block ×5, first 2 shown]
	v_dual_cndmask_b32 v52, -v52, v52, s34 :: v_dual_cndmask_b32 v3, -v3, v3, s34
	v_dual_cndmask_b32 v55, -v55, v55, s34 :: v_dual_cndmask_b32 v4, -v4, v4, s34
	v_cndmask_b32_e64 v57, -v57, v57, s34
	s_wait_dscnt 0x9
	s_delay_alu instid0(VALU_DEP_3)
	v_add_f32_e32 v52, v52, v133
	ds_bpermute_b32 v133, v123, v61
	s_wait_dscnt 0x9
	v_add_f32_e32 v3, v3, v134
	s_wait_dscnt 0x7
	v_dual_add_f32 v55, v55, v139 :: v_dual_add_f32 v4, v4, v141
	s_wait_dscnt 0x6
	v_add_f32_e32 v57, v57, v142
	v_dual_cndmask_b32 v14, -v14, v14, s34 :: v_dual_cndmask_b32 v15, -v15, v15, s34
	v_dual_cndmask_b32 v58, -v58, v58, s34 :: v_dual_cndmask_b32 v60, -v60, v60, s34
	v_cndmask_b32_e64 v11, -v11, v11, s34
	ds_bpermute_b32 v134, v123, v32
	ds_bpermute_b32 v139, v123, v65
	;; [unrolled: 1-line block ×4, first 2 shown]
	s_wait_dscnt 0x7
	v_dual_add_f32 v14, v14, v135 :: v_dual_add_f32 v15, v15, v137
	s_wait_dscnt 0x6
	v_dual_add_f32 v58, v58, v136 :: v_dual_add_f32 v60, v60, v138
	s_wait_dscnt 0x5
	v_add_f32_e32 v11, v11, v140
	ds_bpermute_b32 v135, v123, v23
	ds_bpermute_b32 v136, v123, v68
	;; [unrolled: 1-line block ×5, first 2 shown]
	v_dual_cndmask_b32 v61, -v61, v61, s34 :: v_dual_cndmask_b32 v32, -v32, v32, s34
	v_dual_cndmask_b32 v65, -v65, v65, s34 :: v_dual_cndmask_b32 v22, -v22, v22, s34
	s_wait_dscnt 0x9
	s_delay_alu instid0(VALU_DEP_2)
	v_dual_cndmask_b32 v66, -v66, v66, s34 :: v_dual_add_f32 v61, v61, v133
	ds_bpermute_b32 v133, v123, v73
	s_wait_dscnt 0x8
	v_dual_add_f32 v32, v32, v134 :: v_dual_add_f32 v65, v65, v139
	s_wait_dscnt 0x7
	v_dual_add_f32 v22, v22, v141 :: v_dual_cndmask_b32 v23, -v23, v23, s34
	s_wait_dscnt 0x6
	v_dual_add_f32 v66, v66, v142 :: v_dual_cndmask_b32 v68, -v68, v68, s34
	v_dual_cndmask_b32 v19, -v19, v19, s34 :: v_dual_cndmask_b32 v70, -v70, v70, s34
	s_wait_dscnt 0x5
	v_dual_cndmask_b32 v21, -v21, v21, s34 :: v_dual_add_f32 v23, v23, v135
	ds_bpermute_b32 v134, v123, v30
	ds_bpermute_b32 v139, v123, v76
	;; [unrolled: 1-line block ×4, first 2 shown]
	s_wait_dscnt 0x7
	v_dual_add_f32 v68, v68, v136 :: v_dual_add_f32 v19, v19, v137
	s_wait_dscnt 0x5
	v_dual_add_f32 v70, v70, v138 :: v_dual_add_f32 v21, v21, v140
	ds_bpermute_b32 v135, v123, v27
	ds_bpermute_b32 v136, v123, v71
	;; [unrolled: 1-line block ×5, first 2 shown]
	v_dual_cndmask_b32 v73, -v73, v73, s34 :: v_dual_cndmask_b32 v30, -v30, v30, s34
	v_dual_cndmask_b32 v76, -v76, v76, s34 :: v_dual_cndmask_b32 v77, -v77, v77, s34
	s_wait_dscnt 0x9
	s_delay_alu instid0(VALU_DEP_2)
	v_dual_cndmask_b32 v40, -v40, v40, s34 :: v_dual_add_f32 v73, v73, v133
	ds_bpermute_b32 v133, v123, v80
	s_wait_dscnt 0x8
	v_dual_add_f32 v30, v30, v134 :: v_dual_add_f32 v76, v76, v139
	v_dual_cndmask_b32 v27, -v27, v27, s34 :: v_dual_cndmask_b32 v29, -v29, v29, s34
	v_dual_cndmask_b32 v71, -v71, v71, s34 :: v_dual_cndmask_b32 v38, -v38, v38, s34
	v_cndmask_b32_e64 v79, -v79, v79, s34
	ds_bpermute_b32 v134, v123, v39
	ds_bpermute_b32 v139, v123, v86
	s_wait_dscnt 0x8
	v_dual_add_f32 v40, v40, v141 :: v_dual_add_f32 v77, v77, v142
	ds_bpermute_b32 v141, v123, v35
	ds_bpermute_b32 v142, v123, v72
	s_wait_dscnt 0x5
	v_dual_add_f32 v27, v27, v135 :: v_dual_add_f32 v38, v38, v140
	v_dual_add_f32 v71, v71, v136 :: v_dual_cndmask_b32 v86, -v86, v86, s34
	v_dual_add_f32 v29, v29, v137 :: v_dual_add_f32 v79, v79, v138
	v_cndmask_b32_e64 v80, -v80, v80, s34
	ds_bpermute_b32 v135, v123, v56
	ds_bpermute_b32 v136, v123, v88
	;; [unrolled: 1-line block ×5, first 2 shown]
	v_dual_cndmask_b32 v39, -v39, v39, s34 :: v_dual_cndmask_b32 v72, -v72, v72, s34
	s_wait_dscnt 0x9
	v_dual_cndmask_b32 v35, -v35, v35, s34 :: v_dual_add_f32 v80, v80, v133
	ds_bpermute_b32 v133, v123, v91
	s_wait_dscnt 0x8
	v_dual_add_f32 v39, v39, v134 :: v_dual_add_f32 v86, v86, v139
	v_dual_cndmask_b32 v56, -v56, v56, s34 :: v_dual_cndmask_b32 v46, -v46, v46, s34
	v_dual_cndmask_b32 v88, -v88, v88, s34 :: v_dual_cndmask_b32 v81, -v81, v81, s34
	v_cndmask_b32_e64 v47, -v47, v47, s34
	ds_bpermute_b32 v134, v123, v43
	ds_bpermute_b32 v139, v123, v78
	s_wait_dscnt 0x8
	v_dual_add_f32 v35, v35, v141 :: v_dual_add_f32 v72, v72, v142
	ds_bpermute_b32 v141, v123, v45
	ds_bpermute_b32 v142, v123, v87
	s_wait_dscnt 0x5
	v_dual_add_f32 v56, v56, v135 :: v_dual_add_f32 v46, v46, v137
	v_dual_add_f32 v88, v88, v136 :: v_dual_add_f32 v81, v81, v138
	v_add_f32_e32 v47, v47, v140
	ds_bpermute_b32 v135, v123, v54
	ds_bpermute_b32 v136, v123, v89
	;; [unrolled: 1-line block ×4, first 2 shown]
	v_dual_cndmask_b32 v91, -v91, v91, s34 :: v_dual_cndmask_b32 v78, -v78, v78, s34
	ds_bpermute_b32 v137, v123, v64
	v_dual_cndmask_b32 v43, -v43, v43, s34 :: v_dual_cndmask_b32 v45, -v45, v45, s34
	s_wait_dscnt 0x7
	v_dual_add_f32 v91, v91, v133 :: v_dual_add_f32 v78, v78, v139
	ds_bpermute_b32 v133, v123, v92
	s_wait_dscnt 0x7
	v_dual_cndmask_b32 v87, -v87, v87, s34 :: v_dual_add_f32 v45, v45, v141
	v_dual_add_f32 v43, v43, v134 :: v_dual_cndmask_b32 v89, -v89, v89, s34
	v_dual_cndmask_b32 v54, -v54, v54, s34 :: v_dual_cndmask_b32 v51, -v51, v51, s34
	v_cndmask_b32_e64 v90, -v90, v90, s34
	ds_bpermute_b32 v139, v123, v93
	s_wait_dscnt 0x7
	v_dual_add_f32 v87, v87, v142 :: v_dual_cndmask_b32 v64, -v64, v64, s34
	ds_bpermute_b32 v134, v123, v53
	s_wait_dscnt 0x6
	v_dual_add_f32 v54, v54, v135 :: v_dual_add_f32 v89, v89, v136
	s_wait_dscnt 0x4
	v_dual_add_f32 v90, v90, v138 :: v_dual_add_f32 v51, v51, v140
	ds_bpermute_b32 v135, v123, v63
	ds_bpermute_b32 v140, v123, v84
	;; [unrolled: 1-line block ×3, first 2 shown]
	s_wait_dscnt 0x6
	v_add_f32_e32 v64, v64, v137
	v_dual_cndmask_b32 v92, -v92, v92, s34 :: v_dual_cndmask_b32 v53, -v53, v53, s34
	ds_bpermute_b32 v136, v123, v101
	ds_bpermute_b32 v137, v123, v59
	;; [unrolled: 1-line block ×4, first 2 shown]
	v_dual_cndmask_b32 v93, -v93, v93, s34 :: v_dual_cndmask_b32 v62, -v62, v62, s34
	s_wait_dscnt 0x9
	v_dual_cndmask_b32 v94, -v94, v94, s34 :: v_dual_add_f32 v92, v92, v133
	ds_bpermute_b32 v133, v123, v97
	s_wait_dscnt 0x9
	v_add_f32_e32 v93, v93, v139
	v_dual_cndmask_b32 v63, -v63, v63, s34 :: v_dual_cndmask_b32 v101, -v101, v101, s34
	ds_bpermute_b32 v139, v123, v98
	s_wait_dscnt 0x9
	v_dual_cndmask_b32 v84, -v84, v84, s34 :: v_dual_add_f32 v53, v53, v134
	ds_bpermute_b32 v134, v123, v74
	v_dual_cndmask_b32 v59, -v59, v59, s34 :: v_dual_cndmask_b32 v96, -v96, v96, s34
	s_wait_dscnt 0x8
	v_dual_add_f32 v63, v63, v135 :: v_dual_add_f32 v84, v84, v140
	s_wait_dscnt 0x7
	v_dual_add_f32 v62, v62, v141 :: v_dual_bitop2_b32 v135, 8, v2 bitop3:0x14
	ds_bpermute_b32 v141, v123, v75
	s_wait_dscnt 0x6
	v_dual_add_f32 v101, v101, v136 :: v_dual_add_f32 v59, v59, v137
	s_wait_dscnt 0x5
	v_dual_add_f32 v96, v96, v138 :: v_dual_cndmask_b32 v97, -v97, v97, s34
	ds_bpermute_b32 v136, v123, v110
	ds_bpermute_b32 v137, v123, v67
	;; [unrolled: 1-line block ×3, first 2 shown]
	v_cmp_gt_i32_e64 s35, 32, v135
	s_wait_dscnt 0x6
	v_dual_cndmask_b32 v74, -v74, v74, s34 :: v_dual_add_f32 v97, v97, v133
	v_dual_cndmask_b32 v98, -v98, v98, s34 :: v_dual_cndmask_b32 v75, -v75, v75, s34
	s_delay_alu instid0(VALU_DEP_3) | instskip(SKIP_2) | instid1(VALU_DEP_3)
	v_dual_cndmask_b32 v133, v2, v135, s35 :: v_dual_bitop2_b32 v143, 8, v0 bitop3:0x40
	v_add_f32_e32 v94, v94, v142
	s_wait_dscnt 0x5
	v_add_f32_e32 v98, v98, v139
	s_wait_dscnt 0x4
	v_dual_add_f32 v74, v74, v134 :: v_dual_cndmask_b32 v67, -v67, v67, s34
	v_dual_lshlrev_b32 v133, 2, v133 :: v_dual_cndmask_b32 v110, -v110, v110, s34
	v_cndmask_b32_e64 v99, -v99, v99, s34
	ds_bpermute_b32 v134, v123, v69
	ds_bpermute_b32 v135, v123, v102
	ds_bpermute_b32 v139, v123, v82
	ds_bpermute_b32 v140, v123, v103
	ds_bpermute_b32 v142, v133, v95
	s_wait_dscnt 0x7
	v_dual_add_f32 v75, v75, v141 :: v_dual_add_f32 v110, v110, v136
	s_wait_dscnt 0x6
	v_dual_add_f32 v67, v67, v137 :: v_dual_cndmask_b32 v102, -v102, v102, s34
	s_wait_dscnt 0x5
	v_dual_add_f32 v99, v99, v138 :: v_dual_cndmask_b32 v69, -v69, v69, s34
	v_cmp_eq_u32_e64 s35, 0, v143
	ds_bpermute_b32 v136, v133, v83
	ds_bpermute_b32 v137, v133, v100
	;; [unrolled: 1-line block ×5, first 2 shown]
	v_dual_cndmask_b32 v82, -v82, v82, s34 :: v_dual_cndmask_b32 v103, -v103, v103, s34
	s_wait_dscnt 0x9
	v_dual_cndmask_b32 v95, -v95, v95, s35 :: v_dual_add_f32 v69, v69, v134
	s_wait_dscnt 0x8
	v_add_f32_e32 v102, v102, v135
	s_wait_dscnt 0x6
	v_dual_add_f32 v82, v82, v139 :: v_dual_add_f32 v103, v103, v140
	s_wait_dscnt 0x5
	v_add_f32_e32 v95, v95, v142
	v_dual_cndmask_b32 v83, -v83, v83, s35 :: v_dual_cndmask_b32 v100, -v100, v100, s35
	v_dual_cndmask_b32 v6, -v6, v6, s35 :: v_dual_cndmask_b32 v104, -v104, v104, s35
	v_cndmask_b32_e64 v8, -v8, v8, s35
	ds_bpermute_b32 v134, v133, v105
	ds_bpermute_b32 v135, v133, v85
	;; [unrolled: 1-line block ×5, first 2 shown]
	s_wait_dscnt 0x8
	v_dual_add_f32 v83, v83, v136 :: v_dual_add_f32 v100, v100, v137
	s_wait_dscnt 0x6
	v_dual_add_f32 v6, v6, v138 :: v_dual_add_f32 v104, v104, v141
	s_wait_dscnt 0x5
	v_dual_cndmask_b32 v106, -v106, v106, s35 :: v_dual_add_f32 v8, v8, v143
	v_cndmask_b32_e64 v105, -v105, v105, s35
	ds_bpermute_b32 v136, v133, v5
	ds_bpermute_b32 v137, v133, v109
	;; [unrolled: 1-line block ×5, first 2 shown]
	v_dual_cndmask_b32 v85, -v85, v85, s35 :: v_dual_cndmask_b32 v107, -v107, v107, s35
	s_wait_dscnt 0x9
	v_dual_cndmask_b32 v108, -v108, v108, s35 :: v_dual_add_f32 v105, v105, v134
	v_dual_cndmask_b32 v5, -v5, v5, s35 :: v_dual_cndmask_b32 v111, -v111, v111, s35
	s_wait_dscnt 0x6
	v_dual_add_f32 v85, v85, v135 :: v_dual_add_f32 v107, v107, v140
	s_wait_dscnt 0x5
	v_dual_add_f32 v106, v106, v139 :: v_dual_add_f32 v108, v108, v142
	v_dual_cndmask_b32 v109, -v109, v109, s35 :: v_dual_cndmask_b32 v10, -v10, v10, s35
	v_cndmask_b32_e64 v9, -v9, v9, s35
	ds_bpermute_b32 v134, v133, v112
	ds_bpermute_b32 v135, v133, v12
	;; [unrolled: 1-line block ×5, first 2 shown]
	s_wait_dscnt 0x6
	v_dual_add_f32 v5, v5, v136 :: v_dual_add_f32 v111, v111, v141
	v_dual_add_f32 v109, v109, v137 :: v_dual_cndmask_b32 v112, -v112, v112, s35
	s_wait_dscnt 0x5
	v_dual_add_f32 v10, v10, v143 :: v_dual_add_f32 v9, v9, v138
	v_cndmask_b32_e64 v12, -v12, v12, s35
	ds_bpermute_b32 v136, v133, v17
	ds_bpermute_b32 v137, v133, v115
	;; [unrolled: 1-line block ×5, first 2 shown]
	v_dual_cndmask_b32 v113, -v113, v113, s35 :: v_dual_cndmask_b32 v114, -v114, v114, s35
	s_wait_dscnt 0x9
	v_dual_cndmask_b32 v13, -v13, v13, s35 :: v_dual_add_f32 v112, v112, v134
	s_wait_dscnt 0x8
	v_add_f32_e32 v12, v12, v135
	s_wait_dscnt 0x7
	v_add_f32_e32 v113, v113, v139
	v_dual_cndmask_b32 v17, -v17, v17, s35 :: v_dual_cndmask_b32 v115, -v115, v115, s35
	s_wait_dscnt 0x5
	v_dual_add_f32 v13, v13, v140 :: v_dual_add_f32 v114, v114, v142
	v_dual_cndmask_b32 v18, -v18, v18, s35 :: v_dual_cndmask_b32 v116, -v116, v116, s35
	v_cndmask_b32_e64 v20, -v20, v20, s35
	ds_bpermute_b32 v134, v133, v117
	ds_bpermute_b32 v135, v133, v24
	;; [unrolled: 1-line block ×5, first 2 shown]
	s_wait_dscnt 0x7
	v_dual_add_f32 v17, v17, v136 :: v_dual_add_f32 v18, v18, v138
	v_add_f32_e32 v115, v115, v137
	s_wait_dscnt 0x6
	v_dual_add_f32 v116, v116, v141 :: v_dual_cndmask_b32 v118, -v118, v118, s35
	s_wait_dscnt 0x5
	v_dual_add_f32 v20, v20, v143 :: v_dual_cndmask_b32 v117, -v117, v117, s35
	ds_bpermute_b32 v136, v133, v26
	ds_bpermute_b32 v137, v133, v120
	;; [unrolled: 1-line block ×5, first 2 shown]
	v_dual_cndmask_b32 v24, -v24, v24, s35 :: v_dual_cndmask_b32 v25, -v25, v25, s35
	s_wait_dscnt 0x9
	v_dual_cndmask_b32 v119, -v119, v119, s35 :: v_dual_add_f32 v117, v117, v134
	v_dual_cndmask_b32 v26, -v26, v26, s35 :: v_dual_cndmask_b32 v120, -v120, v120, s35
	s_wait_dscnt 0x6
	v_dual_add_f32 v24, v24, v135 :: v_dual_add_f32 v25, v25, v140
	s_wait_dscnt 0x5
	v_dual_add_f32 v118, v118, v139 :: v_dual_add_f32 v119, v119, v142
	v_dual_cndmask_b32 v28, -v28, v28, s35 :: v_dual_cndmask_b32 v121, -v121, v121, s35
	v_cndmask_b32_e64 v31, -v31, v31, s35
	ds_bpermute_b32 v134, v133, v132
	ds_bpermute_b32 v135, v133, v33
	;; [unrolled: 1-line block ×5, first 2 shown]
	s_wait_dscnt 0x8
	v_dual_add_f32 v26, v26, v136 :: v_dual_add_f32 v120, v120, v137
	s_wait_dscnt 0x5
	v_dual_add_f32 v31, v31, v143 :: v_dual_add_f32 v28, v28, v138
	v_add_f32_e32 v121, v121, v141
	ds_bpermute_b32 v136, v133, v36
	ds_bpermute_b32 v137, v133, v125
	;; [unrolled: 1-line block ×5, first 2 shown]
	v_dual_cndmask_b32 v132, -v132, v132, s35 :: v_dual_cndmask_b32 v33, -v33, v33, s35
	v_dual_cndmask_b32 v131, -v131, v131, s35 :: v_dual_cndmask_b32 v34, -v34, v34, s35
	v_cndmask_b32_e64 v124, -v124, v124, s35
	s_wait_dscnt 0x8
	s_delay_alu instid0(VALU_DEP_3)
	v_dual_add_f32 v132, v132, v134 :: v_dual_add_f32 v33, v33, v135
	s_wait_dscnt 0x6
	v_dual_add_f32 v131, v131, v139 :: v_dual_add_f32 v134, v34, v140
	s_wait_dscnt 0x5
	v_add_f32_e32 v124, v124, v142
	v_dual_cndmask_b32 v34, -v36, v36, s35 :: v_dual_cndmask_b32 v36, -v125, v125, s35
	v_dual_cndmask_b32 v37, -v37, v37, s35 :: v_dual_cndmask_b32 v125, -v128, v128, s35
	s_wait_dscnt 0x4
	s_delay_alu instid0(VALU_DEP_2)
	v_dual_cndmask_b32 v41, -v41, v41, s35 :: v_dual_add_f32 v136, v34, v136
	ds_bpermute_b32 v128, v133, v126
	ds_bpermute_b32 v135, v133, v42
	;; [unrolled: 1-line block ×5, first 2 shown]
	s_wait_dscnt 0x7
	v_dual_add_f32 v137, v36, v137 :: v_dual_add_f32 v138, v37, v138
	s_wait_dscnt 0x6
	v_dual_add_f32 v125, v125, v141 :: v_dual_cndmask_b32 v34, -v126, v126, s35
	s_wait_dscnt 0x5
	v_dual_add_f32 v141, v41, v143 :: v_dual_cndmask_b32 v36, -v42, v42, s35
	v_dual_cndmask_b32 v37, -v127, v127, s35 :: v_dual_cndmask_b32 v41, -v44, v44, s35
	v_cndmask_b32_e64 v42, -v129, v129, s35
	ds_bpermute_b32 v44, v133, v48
	ds_bpermute_b32 v126, v133, v130
	;; [unrolled: 1-line block ×5, first 2 shown]
	s_wait_dscnt 0x9
	v_dual_cndmask_b32 v7, -v7, v7, s35 :: v_dual_add_f32 v128, v34, v128
	s_wait_dscnt 0x8
	v_add_f32_e32 v135, v36, v135
	s_wait_dscnt 0x7
	v_add_f32_e32 v139, v37, v139
	s_wait_dscnt 0x5
	v_dual_add_f32 v140, v41, v140 :: v_dual_add_f32 v142, v42, v142
	v_dual_cndmask_b32 v34, -v48, v48, s35 :: v_dual_cndmask_b32 v36, -v130, v130, s35
	v_dual_cndmask_b32 v37, -v49, v49, s35 :: v_dual_cndmask_b32 v41, -v50, v50, s35
	ds_bpermute_b32 v42, v133, v16
	ds_bpermute_b32 v48, v133, v52
	;; [unrolled: 1-line block ×5, first 2 shown]
	s_wait_dscnt 0x8
	v_dual_add_f32 v144, v34, v44 :: v_dual_add_f32 v126, v36, v126
	s_wait_dscnt 0x6
	v_dual_add_f32 v127, v37, v127 :: v_dual_add_f32 v7, v7, v129
	s_wait_dscnt 0x5
	v_dual_add_f32 v129, v41, v143 :: v_dual_cndmask_b32 v34, -v52, v52, s35
	v_cndmask_b32_e64 v36, -v55, v55, s35
	ds_bpermute_b32 v37, v133, v57
	ds_bpermute_b32 v41, v133, v14
	;; [unrolled: 1-line block ×5, first 2 shown]
	v_dual_cndmask_b32 v16, -v16, v16, s35 :: v_dual_cndmask_b32 v3, -v3, v3, s35
	v_dual_cndmask_b32 v4, -v4, v4, s35 :: v_dual_cndmask_b32 v14, -v14, v14, s35
	s_wait_dscnt 0x8
	s_delay_alu instid0(VALU_DEP_2)
	v_dual_add_f32 v143, v34, v48 :: v_dual_add_f32 v16, v16, v42
	s_wait_dscnt 0x6
	v_dual_add_f32 v3, v3, v49 :: v_dual_add_f32 v145, v36, v50
	s_wait_dscnt 0x5
	v_dual_cndmask_b32 v34, -v57, v57, s35 :: v_dual_add_f32 v4, v4, v130
	v_dual_cndmask_b32 v15, -v15, v15, s35 :: v_dual_cndmask_b32 v36, -v58, v58, s35
	v_cndmask_b32_e64 v42, -v60, v60, s35
	ds_bpermute_b32 v48, v133, v11
	ds_bpermute_b32 v49, v133, v61
	;; [unrolled: 1-line block ×5, first 2 shown]
	s_wait_dscnt 0x8
	v_dual_add_f32 v14, v14, v41 :: v_dual_cndmask_b32 v11, -v11, v11, s35
	s_wait_dscnt 0x6
	v_dual_add_f32 v15, v15, v52 :: v_dual_add_f32 v130, v34, v37
	s_wait_dscnt 0x5
	v_dual_add_f32 v146, v36, v44 :: v_dual_add_f32 v147, v42, v55
	v_cndmask_b32_e64 v34, -v61, v61, s35
	ds_bpermute_b32 v37, v133, v66
	ds_bpermute_b32 v41, v133, v23
	;; [unrolled: 1-line block ×5, first 2 shown]
	v_dual_cndmask_b32 v32, -v32, v32, s35 :: v_dual_cndmask_b32 v36, -v65, v65, s35
	s_wait_dscnt 0x9
	v_dual_cndmask_b32 v22, -v22, v22, s35 :: v_dual_add_f32 v11, v11, v48
	s_wait_dscnt 0x7
	s_delay_alu instid0(VALU_DEP_2) | instskip(SKIP_1) | instid1(VALU_DEP_2)
	v_dual_add_f32 v148, v34, v49 :: v_dual_add_f32 v32, v32, v50
	s_wait_dscnt 0x5
	v_dual_add_f32 v149, v36, v57 :: v_dual_add_f32 v22, v22, v58
	v_dual_cndmask_b32 v34, -v66, v66, s35 :: v_dual_cndmask_b32 v23, -v23, v23, s35
	v_dual_cndmask_b32 v36, -v68, v68, s35 :: v_dual_cndmask_b32 v19, -v19, v19, s35
	v_cndmask_b32_e64 v48, -v70, v70, s35
	ds_bpermute_b32 v49, v133, v21
	ds_bpermute_b32 v50, v133, v73
	;; [unrolled: 1-line block ×5, first 2 shown]
	s_wait_dscnt 0x7
	v_dual_add_f32 v150, v34, v37 :: v_dual_add_f32 v151, v36, v42
	v_add_f32_e32 v23, v23, v41
	s_wait_dscnt 0x6
	v_dual_add_f32 v19, v19, v44 :: v_dual_cndmask_b32 v21, -v21, v21, s35
	s_wait_dscnt 0x5
	v_dual_add_f32 v152, v48, v52 :: v_dual_cndmask_b32 v34, -v73, v73, s35
	v_cndmask_b32_e64 v37, -v40, v40, s35
	ds_bpermute_b32 v40, v133, v77
	ds_bpermute_b32 v41, v133, v27
	;; [unrolled: 1-line block ×5, first 2 shown]
	v_dual_cndmask_b32 v30, -v30, v30, s35 :: v_dual_cndmask_b32 v36, -v76, v76, s35
	s_wait_dscnt 0x8
	v_dual_add_f32 v21, v21, v49 :: v_dual_add_f32 v153, v34, v50
	v_dual_cndmask_b32 v34, -v77, v77, s35 :: v_dual_cndmask_b32 v27, -v27, v27, s35
	s_wait_dscnt 0x5
	v_dual_add_f32 v30, v30, v55 :: v_dual_add_f32 v155, v37, v58
	v_dual_add_f32 v154, v36, v57 :: v_dual_cndmask_b32 v36, -v71, v71, s35
	v_dual_cndmask_b32 v29, -v29, v29, s35 :: v_dual_cndmask_b32 v37, -v79, v79, s35
	ds_bpermute_b32 v49, v133, v38
	ds_bpermute_b32 v50, v133, v80
	;; [unrolled: 1-line block ×5, first 2 shown]
	s_wait_dscnt 0x8
	v_dual_add_f32 v156, v34, v40 :: v_dual_add_f32 v27, v27, v41
	s_wait_dscnt 0x6
	v_dual_add_f32 v157, v36, v42 :: v_dual_add_f32 v158, v37, v48
	v_cndmask_b32_e64 v37, -v39, v39, s35
	ds_bpermute_b32 v39, v133, v72
	ds_bpermute_b32 v40, v133, v56
	;; [unrolled: 1-line block ×4, first 2 shown]
	s_wait_dscnt 0x9
	v_dual_add_f32 v29, v29, v44 :: v_dual_cndmask_b32 v34, -v38, v38, s35
	ds_bpermute_b32 v44, v133, v81
	v_dual_cndmask_b32 v36, -v80, v80, s35 :: v_dual_cndmask_b32 v38, -v86, v86, s35
	s_wait_dscnt 0x9
	v_dual_cndmask_b32 v35, -v35, v35, s35 :: v_dual_add_f32 v159, v34, v49
	v_cndmask_b32_e64 v34, -v72, v72, s35
	s_wait_dscnt 0x7
	v_dual_add_f32 v160, v36, v50 :: v_dual_add_f32 v161, v37, v52
	s_wait_dscnt 0x5
	v_dual_add_f32 v162, v38, v55 :: v_dual_add_f32 v163, v35, v57
	v_dual_cndmask_b32 v35, -v56, v56, s35 :: v_dual_cndmask_b32 v38, -v81, v81, s35
	v_dual_cndmask_b32 v37, -v46, v46, s35 :: v_dual_cndmask_b32 v36, -v88, v88, s35
	s_wait_dscnt 0x4
	v_add_f32_e32 v164, v34, v39
	ds_bpermute_b32 v46, v133, v47
	ds_bpermute_b32 v48, v133, v91
	;; [unrolled: 1-line block ×5, first 2 shown]
	s_wait_dscnt 0x7
	v_dual_add_f32 v165, v35, v40 :: v_dual_add_f32 v166, v36, v41
	s_wait_dscnt 0x5
	v_dual_add_f32 v167, v37, v42 :: v_dual_add_f32 v168, v38, v44
	v_dual_cndmask_b32 v34, -v47, v47, s35 :: v_dual_cndmask_b32 v37, -v78, v78, s35
	v_cndmask_b32_e64 v36, -v43, v43, s35
	ds_bpermute_b32 v39, v133, v87
	ds_bpermute_b32 v40, v133, v54
	;; [unrolled: 1-line block ×5, first 2 shown]
	v_dual_cndmask_b32 v35, -v91, v91, s35 :: v_dual_cndmask_b32 v38, -v45, v45, s35
	ds_bpermute_b32 v44, v133, v51
	ds_bpermute_b32 v45, v133, v92
	ds_bpermute_b32 v47, v133, v93
	s_wait_dscnt 0xb
	v_dual_add_f32 v169, v34, v46 :: v_dual_add_f32 v170, v35, v48
	s_wait_dscnt 0x9
	v_dual_add_f32 v171, v36, v49 :: v_dual_add_f32 v172, v37, v50
	s_wait_dscnt 0x8
	v_dual_add_f32 v173, v38, v52 :: v_dual_cndmask_b32 v34, -v87, v87, s35
	v_dual_cndmask_b32 v35, -v54, v54, s35 :: v_dual_cndmask_b32 v36, -v89, v89, s35
	v_dual_cndmask_b32 v37, -v64, v64, s35 :: v_dual_cndmask_b32 v38, -v90, v90, s35
	ds_bpermute_b32 v46, v133, v53
	ds_bpermute_b32 v48, v133, v62
	s_wait_dscnt 0x7
	v_dual_add_f32 v174, v34, v39 :: v_dual_add_f32 v176, v36, v41
	s_wait_dscnt 0x6
	v_dual_add_f32 v175, v35, v40 :: v_dual_add_f32 v177, v37, v42
	s_wait_dscnt 0x5
	v_add_f32_e32 v178, v38, v43
	v_dual_cndmask_b32 v34, -v51, v51, s35 :: v_dual_cndmask_b32 v35, -v92, v92, s35
	v_cndmask_b32_e64 v37, -v93, v93, s35
	ds_bpermute_b32 v39, v133, v94
	ds_bpermute_b32 v40, v133, v63
	ds_bpermute_b32 v41, v133, v101
	ds_bpermute_b32 v42, v133, v59
	ds_bpermute_b32 v43, v133, v96
	v_dual_cndmask_b32 v36, -v53, v53, s35 :: v_dual_cndmask_b32 v38, -v62, v62, s35
	s_wait_dscnt 0x8
	v_dual_add_f32 v179, v34, v44 :: v_dual_add_f32 v180, v35, v45
	s_wait_dscnt 0x7
	v_add_f32_e32 v182, v37, v47
	ds_bpermute_b32 v37, v133, v84
	ds_bpermute_b32 v44, v133, v74
	ds_bpermute_b32 v45, v133, v98
	s_wait_dscnt 0x8
	v_dual_add_f32 v181, v36, v46 :: v_dual_add_f32 v183, v38, v48
	v_dual_cndmask_b32 v34, -v94, v94, s35 :: v_dual_cndmask_b32 v35, -v63, v63, s35
	v_dual_cndmask_b32 v36, -v101, v101, s35 :: v_dual_cndmask_b32 v47, -v59, v59, s35
	ds_bpermute_b32 v38, v133, v97
	ds_bpermute_b32 v46, v133, v75
	s_wait_dscnt 0x9
	v_dual_cndmask_b32 v48, -v96, v96, s35 :: v_dual_add_f32 v184, v34, v39
	s_wait_dscnt 0x7
	v_dual_add_f32 v185, v35, v40 :: v_dual_add_f32 v186, v36, v41
	s_wait_dscnt 0x5
	s_delay_alu instid0(VALU_DEP_2)
	v_dual_add_f32 v187, v47, v42 :: v_dual_add_f32 v188, v48, v43
	v_dual_cndmask_b32 v34, -v84, v84, s35 :: v_dual_cndmask_b32 v35, -v97, v97, s35
	v_dual_cndmask_b32 v36, -v74, v74, s35 :: v_dual_cndmask_b32 v43, -v75, v75, s35
	v_cndmask_b32_e64 v42, -v98, v98, s35
	ds_bpermute_b32 v39, v133, v110
	ds_bpermute_b32 v41, v133, v99
	s_wait_dscnt 0x5
	v_dual_add_f32 v189, v34, v37 :: v_dual_add_f32 v191, v36, v44
	s_wait_dscnt 0x4
	v_dual_add_f32 v192, v42, v45 :: v_dual_bitop2_b32 v34, 16, v2 bitop3:0x14
	ds_bpermute_b32 v40, v133, v67
	s_wait_dscnt 0x4
	v_add_f32_e32 v190, v35, v38
	v_dual_cndmask_b32 v35, -v110, v110, s35 :: v_dual_cndmask_b32 v36, -v67, v67, s35
	v_cmp_gt_i32_e64 s36, 32, v34
	s_wait_dscnt 0x3
	v_add_f32_e32 v193, v43, v46
	v_cndmask_b32_e64 v37, -v99, v99, s35
	ds_bpermute_b32 v38, v133, v69
	ds_bpermute_b32 v42, v133, v102
	;; [unrolled: 1-line block ×4, first 2 shown]
	v_dual_cndmask_b32 v2, v2, v34, s36 :: v_dual_cndmask_b32 v34, -v69, v69, s35
	s_wait_dscnt 0x0
	v_dual_add_f32 v194, v35, v39 :: v_dual_add_f32 v196, v37, v41
	s_delay_alu instid0(VALU_DEP_2)
	v_lshlrev_b32_e32 v197, 2, v2
	v_dual_cndmask_b32 v35, -v82, v82, s35 :: v_dual_bitop2_b32 v37, 16, v0 bitop3:0x40
	v_dual_cndmask_b32 v2, -v102, v102, s35 :: v_dual_add_f32 v195, v36, v40
	ds_bpermute_b32 v39, v197, v95
	v_cndmask_b32_e64 v36, -v103, v103, s35
	ds_bpermute_b32 v40, v197, v83
	ds_bpermute_b32 v41, v197, v100
	;; [unrolled: 1-line block ×4, first 2 shown]
	v_cmp_eq_u32_e64 s35, 0, v37
	ds_bpermute_b32 v37, v197, v8
	v_dual_add_f32 v198, v34, v38 :: v_dual_add_f32 v200, v35, v43
	v_dual_add_f32 v199, v2, v42 :: v_dual_add_f32 v201, v36, v44
	ds_bpermute_b32 v42, v197, v105
	ds_bpermute_b32 v43, v197, v85
	;; [unrolled: 1-line block ×4, first 2 shown]
	v_dual_cndmask_b32 v2, -v95, v95, s35 :: v_dual_cndmask_b32 v35, -v100, v100, s35
	v_dual_cndmask_b32 v34, -v83, v83, s35 :: v_dual_cndmask_b32 v6, -v6, v6, s35
	s_wait_dscnt 0x9
	s_delay_alu instid0(VALU_DEP_2)
	v_dual_cndmask_b32 v36, -v104, v104, s35 :: v_dual_add_f32 v38, v2, v39
	ds_bpermute_b32 v47, v197, v107
	v_cndmask_b32_e64 v2, -v8, v8, s35
	ds_bpermute_b32 v49, v197, v5
	ds_bpermute_b32 v50, v197, v109
	;; [unrolled: 1-line block ×4, first 2 shown]
	s_wait_dscnt 0xc
	v_dual_add_f32 v39, v34, v40 :: v_dual_add_f32 v40, v35, v41
	s_wait_dscnt 0xa
	v_dual_add_f32 v41, v6, v45 :: v_dual_add_f32 v34, v36, v46
	v_cndmask_b32_e64 v6, -v105, v105, s35
	v_dual_cndmask_b32 v8, -v85, v85, s35 :: v_dual_cndmask_b32 v45, -v106, v106, s35
	s_wait_dscnt 0x9
	v_dual_cndmask_b32 v46, -v107, v107, s35 :: v_dual_add_f32 v35, v2, v37
	v_dual_cndmask_b32 v2, -v108, v108, s35 :: v_dual_cndmask_b32 v5, -v5, v5, s35
	ds_bpermute_b32 v53, v197, v10
	ds_bpermute_b32 v54, v197, v112
	;; [unrolled: 1-line block ×4, first 2 shown]
	s_wait_dscnt 0xb
	v_dual_add_f32 v36, v6, v42 :: v_dual_add_f32 v37, v8, v43
	s_wait_dscnt 0x8
	v_dual_add_f32 v42, v45, v44 :: v_dual_add_f32 v43, v46, v47
	v_dual_cndmask_b32 v8, -v9, v9, s35 :: v_dual_add_f32 v44, v2, v48
	ds_bpermute_b32 v57, v197, v13
	v_cndmask_b32_e64 v2, -v10, v10, s35
	ds_bpermute_b32 v10, v197, v114
	v_dual_cndmask_b32 v6, -v109, v109, s35 :: v_dual_cndmask_b32 v9, -v111, v111, s35
	s_wait_dscnt 0x7
	v_dual_add_f32 v45, v5, v49 :: v_dual_add_f32 v47, v8, v51
	s_delay_alu instid0(VALU_DEP_2)
	v_dual_cndmask_b32 v5, -v112, v112, s35 :: v_dual_add_f32 v46, v6, v50
	s_wait_dscnt 0x6
	v_add_f32_e32 v48, v9, v52
	v_dual_cndmask_b32 v6, -v12, v12, s35 :: v_dual_cndmask_b32 v8, -v113, v113, s35
	v_cndmask_b32_e64 v9, -v13, v13, s35
	ds_bpermute_b32 v12, v197, v17
	ds_bpermute_b32 v13, v197, v115
	;; [unrolled: 1-line block ×4, first 2 shown]
	s_wait_dscnt 0x8
	v_dual_add_f32 v49, v2, v53 :: v_dual_add_f32 v50, v5, v54
	s_wait_dscnt 0x6
	v_dual_add_f32 v51, v6, v55 :: v_dual_add_f32 v52, v8, v56
	s_wait_dscnt 0x5
	v_dual_add_f32 v53, v9, v57 :: v_dual_cndmask_b32 v2, -v114, v114, s35
	v_dual_cndmask_b32 v5, -v17, v17, s35 :: v_dual_cndmask_b32 v6, -v115, v115, s35
	v_cndmask_b32_e64 v8, -v18, v18, s35
	ds_bpermute_b32 v17, v197, v20
	ds_bpermute_b32 v18, v197, v117
	;; [unrolled: 1-line block ×3, first 2 shown]
	s_wait_dscnt 0x7
	v_dual_cndmask_b32 v9, -v116, v116, s35 :: v_dual_add_f32 v58, v2, v10
	ds_bpermute_b32 v57, v197, v24
	ds_bpermute_b32 v64, v197, v25
	v_cndmask_b32_e64 v2, -v20, v20, s35
	ds_bpermute_b32 v10, v197, v119
	ds_bpermute_b32 v20, v197, v28
	s_wait_dscnt 0x9
	v_dual_add_f32 v59, v5, v12 :: v_dual_add_f32 v60, v6, v13
	s_wait_dscnt 0x7
	v_dual_add_f32 v61, v8, v61 :: v_dual_add_f32 v54, v9, v62
	v_dual_cndmask_b32 v5, -v117, v117, s35 :: v_dual_cndmask_b32 v6, -v24, v24, s35
	v_cndmask_b32_e64 v8, -v118, v118, s35
	ds_bpermute_b32 v12, v197, v26
	ds_bpermute_b32 v13, v197, v120
	;; [unrolled: 1-line block ×3, first 2 shown]
	v_cndmask_b32_e64 v9, -v25, v25, s35
	s_wait_dscnt 0x8
	v_dual_add_f32 v55, v2, v17 :: v_dual_add_f32 v56, v5, v18
	s_wait_dscnt 0x7
	v_add_f32_e32 v62, v8, v63
	v_dual_cndmask_b32 v2, -v119, v119, s35 :: v_dual_cndmask_b32 v5, -v26, v26, s35
	v_cndmask_b32_e64 v8, -v28, v28, s35
	ds_bpermute_b32 v17, v197, v31
	ds_bpermute_b32 v18, v197, v132
	;; [unrolled: 1-line block ×5, first 2 shown]
	s_wait_dscnt 0xa
	v_dual_add_f32 v57, v6, v57 :: v_dual_add_f32 v63, v9, v64
	s_wait_dscnt 0x8
	v_dual_add_f32 v64, v2, v10 :: v_dual_add_f32 v67, v8, v20
	v_cndmask_b32_e64 v2, -v31, v31, s35
	ds_bpermute_b32 v20, v197, v138
	v_dual_cndmask_b32 v6, -v120, v120, s35 :: v_dual_cndmask_b32 v9, -v121, v121, s35
	s_wait_dscnt 0x8
	v_add_f32_e32 v65, v5, v12
	v_dual_cndmask_b32 v5, -v132, v132, s35 :: v_dual_cndmask_b32 v8, -v131, v131, s35
	s_wait_dscnt 0x6
	v_dual_add_f32 v66, v6, v13 :: v_dual_add_f32 v68, v9, v24
	v_dual_cndmask_b32 v6, -v33, v33, s35 :: v_dual_cndmask_b32 v9, -v134, v134, s35
	ds_bpermute_b32 v10, v197, v124
	ds_bpermute_b32 v12, v197, v136
	;; [unrolled: 1-line block ×4, first 2 shown]
	s_wait_dscnt 0x8
	v_dual_add_f32 v69, v2, v17 :: v_dual_add_f32 v70, v5, v18
	s_wait_dscnt 0x6
	v_dual_add_f32 v71, v6, v25 :: v_dual_add_f32 v72, v8, v26
	v_cndmask_b32_e64 v2, -v124, v124, s35
	s_wait_dscnt 0x5
	v_dual_add_f32 v73, v9, v28 :: v_dual_cndmask_b32 v8, -v138, v138, s35
	ds_bpermute_b32 v17, v197, v141
	ds_bpermute_b32 v18, v197, v128
	ds_bpermute_b32 v25, v197, v135
	ds_bpermute_b32 v26, v197, v139
	ds_bpermute_b32 v28, v197, v140
	s_wait_dscnt 0x9
	v_add_f32_e32 v77, v8, v20
	ds_bpermute_b32 v20, v197, v127
	v_dual_cndmask_b32 v5, -v136, v136, s35 :: v_dual_cndmask_b32 v6, -v137, v137, s35
	s_wait_dscnt 0x9
	v_dual_cndmask_b32 v9, -v125, v125, s35 :: v_dual_add_f32 v74, v2, v10
	v_cndmask_b32_e64 v2, -v141, v141, s35
	s_wait_dscnt 0x7
	v_dual_add_f32 v75, v5, v12 :: v_dual_add_f32 v76, v6, v13
	s_wait_dscnt 0x6
	v_dual_add_f32 v78, v9, v24 :: v_dual_cndmask_b32 v6, -v135, v135, s35
	v_dual_cndmask_b32 v5, -v128, v128, s35 :: v_dual_cndmask_b32 v8, -v139, v139, s35
	v_cndmask_b32_e64 v9, -v140, v140, s35
	ds_bpermute_b32 v10, v197, v142
	ds_bpermute_b32 v12, v197, v144
	;; [unrolled: 1-line block ×4, first 2 shown]
	s_wait_dscnt 0x8
	v_dual_add_f32 v79, v2, v17 :: v_dual_add_f32 v80, v5, v18
	s_wait_dscnt 0x6
	v_dual_add_f32 v81, v6, v25 :: v_dual_add_f32 v82, v8, v26
	s_wait_dscnt 0x5
	v_dual_add_f32 v83, v9, v28 :: v_dual_cndmask_b32 v6, -v126, v126, s35
	v_cndmask_b32_e64 v8, -v127, v127, s35
	ds_bpermute_b32 v9, v197, v129
	ds_bpermute_b32 v17, v197, v16
	;; [unrolled: 1-line block ×5, first 2 shown]
	s_wait_dscnt 0x9
	v_add_f32_e32 v87, v8, v20
	ds_bpermute_b32 v8, v197, v4
	v_dual_cndmask_b32 v2, -v142, v142, s35 :: v_dual_cndmask_b32 v5, -v144, v144, s35
	v_cndmask_b32_e64 v7, -v7, v7, s35
	ds_bpermute_b32 v20, v197, v181
	s_wait_dscnt 0x8
	v_add_f32_e32 v86, v6, v13
	v_dual_add_f32 v84, v2, v10 :: v_dual_add_f32 v85, v5, v12
	s_wait_dscnt 0x7
	v_dual_add_f32 v88, v7, v24 :: v_dual_cndmask_b32 v7, -v145, v145, s35
	v_dual_cndmask_b32 v2, -v129, v129, s35 :: v_dual_cndmask_b32 v5, -v16, v16, s35
	v_cndmask_b32_e64 v6, -v143, v143, s35
	v_cndmask_b32_e64 v3, -v3, v3, s35
	ds_bpermute_b32 v10, v197, v130
	ds_bpermute_b32 v12, v197, v14
	;; [unrolled: 1-line block ×4, first 2 shown]
	s_wait_dscnt 0xa
	v_add_f32_e32 v89, v2, v9
	s_wait_dscnt 0x8
	v_dual_add_f32 v90, v5, v17 :: v_dual_add_f32 v91, v6, v18
	s_wait_dscnt 0x7
	v_dual_add_f32 v92, v3, v25 :: v_dual_cndmask_b32 v2, -v4, v4, s35
	s_wait_dscnt 0x6
	v_add_f32_e32 v93, v7, v26
	v_dual_cndmask_b32 v3, -v130, v130, s35 :: v_dual_cndmask_b32 v6, -v15, v15, s35
	v_cndmask_b32_e64 v5, -v146, v146, s35
	v_cndmask_b32_e64 v4, -v14, v14, s35
	ds_bpermute_b32 v7, v197, v147
	ds_bpermute_b32 v9, v197, v11
	;; [unrolled: 1-line block ×5, first 2 shown]
	s_wait_dscnt 0xa
	v_add_f32_e32 v94, v2, v8
	ds_bpermute_b32 v8, v197, v22
	s_wait_dscnt 0x7
	v_dual_add_f32 v95, v3, v10 :: v_dual_add_f32 v97, v5, v13
	v_dual_add_f32 v96, v4, v12 :: v_dual_cndmask_b32 v2, -v147, v147, s35
	v_dual_cndmask_b32 v4, -v148, v148, s35 :: v_dual_cndmask_b32 v3, -v11, v11, s35
	v_cndmask_b32_e64 v5, -v32, v32, s35
	ds_bpermute_b32 v10, v197, v150
	ds_bpermute_b32 v11, v197, v23
	;; [unrolled: 1-line block ×4, first 2 shown]
	s_wait_dscnt 0xa
	v_dual_add_f32 v98, v6, v16 :: v_dual_cndmask_b32 v6, -v149, v149, s35
	s_wait_dscnt 0x8
	v_dual_add_f32 v99, v2, v7 :: v_dual_add_f32 v100, v3, v9
	s_wait_dscnt 0x6
	v_dual_add_f32 v101, v4, v14 :: v_dual_add_f32 v102, v5, v15
	s_wait_dscnt 0x5
	v_add_f32_e32 v103, v6, v17
	v_dual_cndmask_b32 v2, -v22, v22, s35 :: v_dual_cndmask_b32 v4, -v23, v23, s35
	ds_bpermute_b32 v7, v197, v152
	ds_bpermute_b32 v9, v197, v21
	;; [unrolled: 1-line block ×5, first 2 shown]
	s_wait_dscnt 0x9
	v_dual_cndmask_b32 v6, -v19, v19, s35 :: v_dual_add_f32 v104, v2, v8
	ds_bpermute_b32 v8, v197, v155
	v_dual_cndmask_b32 v3, -v150, v150, s35 :: v_dual_cndmask_b32 v5, -v151, v151, s35
	s_wait_dscnt 0x6
	v_dual_add_f32 v106, v4, v11 :: v_dual_add_f32 v108, v6, v13
	s_delay_alu instid0(VALU_DEP_2) | instskip(NEXT) | instid1(VALU_DEP_3)
	v_dual_cndmask_b32 v2, -v152, v152, s35 :: v_dual_add_f32 v105, v3, v10
	v_add_f32_e32 v107, v5, v12
	v_cndmask_b32_e64 v3, -v21, v21, s35
	v_dual_cndmask_b32 v4, -v153, v153, s35 :: v_dual_cndmask_b32 v5, -v30, v30, s35
	v_cndmask_b32_e64 v6, -v154, v154, s35
	ds_bpermute_b32 v10, v197, v156
	ds_bpermute_b32 v11, v197, v27
	;; [unrolled: 1-line block ×4, first 2 shown]
	s_wait_dscnt 0x7
	v_dual_add_f32 v109, v2, v7 :: v_dual_add_f32 v111, v4, v14
	s_wait_dscnt 0x6
	v_dual_add_f32 v110, v3, v9 :: v_dual_add_f32 v112, v5, v15
	s_wait_dscnt 0x5
	v_dual_add_f32 v113, v6, v16 :: v_dual_cndmask_b32 v2, -v155, v155, s35
	v_cndmask_b32_e64 v3, -v156, v156, s35
	ds_bpermute_b32 v7, v197, v158
	ds_bpermute_b32 v9, v197, v159
	;; [unrolled: 1-line block ×5, first 2 shown]
	s_wait_dscnt 0x9
	v_dual_cndmask_b32 v6, -v29, v29, s35 :: v_dual_add_f32 v114, v2, v8
	ds_bpermute_b32 v8, v197, v163
	v_dual_cndmask_b32 v4, -v27, v27, s35 :: v_dual_cndmask_b32 v5, -v157, v157, s35
	s_wait_dscnt 0x9
	v_add_f32_e32 v115, v3, v10
	v_dual_cndmask_b32 v2, -v158, v158, s35 :: v_dual_cndmask_b32 v3, -v159, v159, s35
	s_wait_dscnt 0x7
	v_dual_add_f32 v116, v4, v11 :: v_dual_add_f32 v117, v5, v12
	s_wait_dscnt 0x6
	v_dual_add_f32 v118, v6, v13 :: v_dual_cndmask_b32 v4, -v160, v160, s35
	v_dual_cndmask_b32 v5, -v161, v161, s35 :: v_dual_cndmask_b32 v6, -v162, v162, s35
	ds_bpermute_b32 v10, v197, v164
	ds_bpermute_b32 v11, v197, v165
	;; [unrolled: 1-line block ×4, first 2 shown]
	s_wait_dscnt 0x7
	v_dual_add_f32 v119, v2, v7 :: v_dual_add_f32 v121, v4, v14
	s_wait_dscnt 0x6
	v_dual_add_f32 v120, v3, v9 :: v_dual_add_f32 v128, v5, v15
	s_wait_dscnt 0x5
	v_dual_add_f32 v129, v6, v16 :: v_dual_cndmask_b32 v2, -v163, v163, s35
	v_cndmask_b32_e64 v3, -v164, v164, s35
	ds_bpermute_b32 v7, v197, v168
	ds_bpermute_b32 v9, v197, v169
	;; [unrolled: 1-line block ×5, first 2 shown]
	s_wait_dscnt 0x9
	v_dual_cndmask_b32 v6, -v167, v167, s35 :: v_dual_add_f32 v130, v2, v8
	ds_bpermute_b32 v8, v197, v173
	ds_bpermute_b32 v17, v197, v177
	v_dual_cndmask_b32 v4, -v165, v165, s35 :: v_dual_cndmask_b32 v5, -v166, v166, s35
	s_wait_dscnt 0x7
	v_dual_add_f32 v131, v3, v10 :: v_dual_add_f32 v134, v6, v13
	v_dual_cndmask_b32 v2, -v168, v168, s35 :: v_dual_cndmask_b32 v3, -v169, v169, s35
	s_delay_alu instid0(VALU_DEP_3) | instskip(SKIP_2) | instid1(VALU_DEP_3)
	v_dual_add_f32 v132, v4, v11 :: v_dual_add_f32 v133, v5, v12
	v_dual_cndmask_b32 v4, -v170, v170, s35 :: v_dual_cndmask_b32 v5, -v171, v171, s35
	s_wait_dscnt 0x6
	v_dual_cndmask_b32 v6, -v172, v172, s35 :: v_dual_add_f32 v135, v2, v7
	ds_bpermute_b32 v11, v197, v174
	ds_bpermute_b32 v12, v197, v175
	;; [unrolled: 1-line block ×3, first 2 shown]
	s_wait_dscnt 0x7
	v_dual_add_f32 v2, v3, v9 :: v_dual_add_f32 v3, v4, v14
	s_wait_dscnt 0x5
	v_dual_add_f32 v4, v5, v15 :: v_dual_add_f32 v5, v6, v16
	v_dual_cndmask_b32 v6, -v173, v173, s35 :: v_dual_cndmask_b32 v7, -v174, v174, s35
	v_cndmask_b32_e64 v15, -v177, v177, s35
	ds_bpermute_b32 v16, v197, v178
	ds_bpermute_b32 v18, v197, v179
	;; [unrolled: 1-line block ×4, first 2 shown]
	s_wait_dscnt 0x7
	v_dual_add_f32 v10, v6, v8 :: v_dual_add_f32 v6, v15, v17
	ds_bpermute_b32 v17, v197, v183
	ds_bpermute_b32 v22, v197, v184
	;; [unrolled: 1-line block ×5, first 2 shown]
	v_dual_cndmask_b32 v9, -v175, v175, s35 :: v_dual_cndmask_b32 v14, -v176, v176, s35
	ds_bpermute_b32 v26, v197, v188
	ds_bpermute_b32 v27, v197, v189
	;; [unrolled: 1-line block ×3, first 2 shown]
	s_wait_dscnt 0xd
	v_dual_add_f32 v11, v7, v11 :: v_dual_add_f32 v12, v9, v12
	s_wait_dscnt 0xc
	v_dual_add_f32 v13, v14, v13 :: v_dual_cndmask_b32 v8, -v179, v179, s35
	v_dual_cndmask_b32 v7, -v178, v178, s35 :: v_dual_cndmask_b32 v9, -v180, v180, s35
	v_dual_cndmask_b32 v14, -v181, v181, s35 :: v_dual_cndmask_b32 v15, -v182, v182, s35
	ds_bpermute_b32 v29, v197, v191
	ds_bpermute_b32 v30, v197, v192
	;; [unrolled: 1-line block ×4, first 2 shown]
	s_wait_dscnt 0xe
	v_dual_add_f32 v7, v7, v16 :: v_dual_add_f32 v8, v8, v18
	s_wait_dscnt 0xd
	v_dual_add_f32 v9, v9, v19 :: v_dual_add_f32 v14, v14, v20
	s_wait_dscnt 0xc
	v_add_f32_e32 v15, v15, v21
	v_dual_cndmask_b32 v16, -v183, v183, s35 :: v_dual_cndmask_b32 v18, -v184, v184, s35
	v_dual_cndmask_b32 v19, -v185, v185, s35 :: v_dual_cndmask_b32 v20, -v186, v186, s35
	s_wait_dscnt 0xb
	s_delay_alu instid0(VALU_DEP_2)
	v_dual_cndmask_b32 v21, -v187, v187, s35 :: v_dual_add_f32 v16, v16, v17
	ds_bpermute_b32 v32, v197, v194
	ds_bpermute_b32 v124, v197, v196
	;; [unrolled: 1-line block ×3, first 2 shown]
	s_wait_dscnt 0xc
	v_dual_add_f32 v17, v18, v22 :: v_dual_add_f32 v18, v19, v23
	s_wait_dscnt 0xa
	v_dual_add_f32 v19, v20, v24 :: v_dual_add_f32 v20, v21, v25
	v_dual_cndmask_b32 v21, -v188, v188, s35 :: v_dual_cndmask_b32 v22, -v189, v189, s35
	v_dual_cndmask_b32 v23, -v190, v190, s35 :: v_dual_cndmask_b32 v24, -v191, v191, s35
	s_wait_dscnt 0x9
	s_delay_alu instid0(VALU_DEP_2) | instskip(SKIP_1) | instid1(VALU_DEP_2)
	v_dual_cndmask_b32 v25, -v192, v192, s35 :: v_dual_add_f32 v21, v21, v26
	s_wait_dscnt 0x7
	v_dual_add_f32 v22, v22, v27 :: v_dual_add_f32 v23, v23, v28
	v_dual_cndmask_b32 v26, -v193, v193, s35 :: v_dual_cndmask_b32 v27, -v194, v194, s35
	ds_bpermute_b32 v126, v197, v199
	s_wait_dscnt 0x7
	v_dual_cndmask_b32 v28, -v195, v195, s35 :: v_dual_add_f32 v24, v24, v29
	s_wait_dscnt 0x6
	v_add_f32_e32 v25, v25, v30
	ds_bpermute_b32 v127, v197, v200
	ds_bpermute_b32 v136, v197, v201
	s_wait_dscnt 0x5
	v_dual_add_f32 v26, v26, v31 :: v_dual_add_f32 v27, v27, v32
	v_dual_cndmask_b32 v29, -v196, v196, s35 :: v_dual_cndmask_b32 v30, -v198, v198, s35
	v_dual_add_f32 v28, v28, v33 :: v_dual_bitop2_b32 v31, 7, v0 bitop3:0x40
	v_dual_lshrrev_b32 v32, 5, v0 :: v_dual_lshrrev_b32 v33, 3, v0
	s_wait_dscnt 0x3
	s_delay_alu instid0(VALU_DEP_3) | instskip(NEXT) | instid1(VALU_DEP_3)
	v_dual_add_f32 v30, v30, v125 :: v_dual_add_f32 v29, v29, v124
	v_lshlrev_b32_e32 v124, 5, v31
	v_dual_cndmask_b32 v125, -v199, v199, s35 :: v_dual_cndmask_b32 v137, -v200, v200, s35
	v_dual_cndmask_b32 v138, -v201, v201, s35 :: v_dual_bitop2_b32 v139, v32, v0 bitop3:0x14
	s_delay_alu instid0(VALU_DEP_3) | instskip(SKIP_1) | instid1(VALU_DEP_3)
	v_bitop3_b32 v124, v124, v31, v33 bitop3:0x36
	s_wait_dscnt 0x2
	v_add_f32_e32 v31, v125, v126
	s_barrier_signal -1
	s_wait_dscnt 0x1
	v_add_f32_e32 v32, v137, v127
	v_lshl_add_u32 v126, v139, 4, 0
	v_lshl_add_u32 v124, v124, 4, 0
	s_wait_dscnt 0x0
	v_add_f32_e32 v33, v138, v136
	s_barrier_wait -1
	ds_store_b128 v126, v[38:41]
	ds_store_b128 v126, v[34:37] offset:4096
	ds_store_b128 v126, v[42:45] offset:8192
	;; [unrolled: 1-line block ×7, first 2 shown]
	s_wait_dscnt 0x0
	s_barrier_signal -1
	s_barrier_wait -1
	ds_load_b128 v[56:59], v124
	ds_load_b128 v[60:63], v124 offset:4096
	ds_load_b128 v[136:139], v124 offset:8192
	;; [unrolled: 1-line block ×7, first 2 shown]
	s_wait_dscnt 0x0
	s_barrier_signal -1
	s_barrier_wait -1
	ds_store_b128 v126, v[66:69]
	ds_store_b128 v126, v[70:73] offset:4096
	ds_store_b128 v126, v[74:77] offset:8192
	;; [unrolled: 1-line block ×7, first 2 shown]
	s_wait_dscnt 0x0
	s_barrier_signal -1
	s_barrier_wait -1
	ds_load_b128 v[64:67], v124
	ds_load_b128 v[68:71], v124 offset:4096
	ds_load_b128 v[72:75], v124 offset:8192
	;; [unrolled: 1-line block ×7, first 2 shown]
	s_wait_dscnt 0x0
	s_barrier_signal -1
	ds_bpermute_b32 v92, v1, v56
	ds_bpermute_b32 v93, v1, v57
	s_barrier_wait -1
	s_wait_dscnt 0x0
	ds_store_b128 v126, v[98:101]
	ds_store_b128 v126, v[102:105] offset:4096
	ds_store_b128 v126, v[106:109] offset:8192
	;; [unrolled: 1-line block ×5, first 2 shown]
	ds_bpermute_b32 v100, v1, v62
	v_dual_cndmask_b32 v94, -v56, v56, s1 :: v_dual_cndmask_b32 v95, -v57, v57, s1
	ds_bpermute_b32 v96, v1, v58
	ds_bpermute_b32 v97, v1, v59
	;; [unrolled: 1-line block ×4, first 2 shown]
	v_dual_cndmask_b32 v61, -v61, v61, s1 :: v_dual_cndmask_b32 v62, -v62, v62, s1
	ds_bpermute_b32 v101, v1, v137
	ds_bpermute_b32 v102, v1, v138
	;; [unrolled: 1-line block ×6, first 2 shown]
	v_dual_add_f32 v92, v94, v92 :: v_dual_add_f32 v93, v95, v93
	v_cndmask_b32_e64 v58, -v58, v58, s1
	ds_bpermute_b32 v94, v1, v63
	ds_bpermute_b32 v95, v1, v136
	s_wait_dscnt 0xc
	v_dual_add_f32 v62, v62, v100 :: v_dual_cndmask_b32 v63, -v63, v63, s1
	ds_bpermute_b32 v100, v1, v140
	ds_bpermute_b32 v107, v1, v144
	v_dual_cndmask_b32 v59, -v59, v59, s1 :: v_dual_cndmask_b32 v60, -v60, v60, s1
	ds_bpermute_b32 v108, v1, v145
	ds_bpermute_b32 v109, v1, v146
	;; [unrolled: 1-line block ×5, first 2 shown]
	s_wait_dscnt 0x11
	v_dual_add_f32 v58, v58, v96 :: v_dual_add_f32 v59, v59, v97
	s_wait_dscnt 0xf
	v_dual_add_f32 v60, v60, v98 :: v_dual_add_f32 v61, v61, v99
	v_dual_cndmask_b32 v96, -v136, v136, s1 :: v_dual_cndmask_b32 v97, -v137, v137, s1
	v_dual_cndmask_b32 v98, -v138, v138, s1 :: v_dual_cndmask_b32 v99, -v139, v139, s1
	ds_bpermute_b32 v115, v1, v152
	ds_bpermute_b32 v116, v1, v153
	;; [unrolled: 1-line block ×3, first 2 shown]
	s_wait_dscnt 0xa
	v_dual_add_f32 v63, v63, v94 :: v_dual_add_f32 v94, v96, v95
	v_dual_add_f32 v95, v97, v101 :: v_dual_add_f32 v96, v98, v102
	v_dual_add_f32 v97, v99, v103 :: v_dual_cndmask_b32 v98, -v140, v140, s1
	v_dual_cndmask_b32 v99, -v141, v141, s1 :: v_dual_cndmask_b32 v101, -v142, v142, s1
	v_dual_cndmask_b32 v102, -v143, v143, s1 :: v_dual_cndmask_b32 v103, -v144, v144, s1
	ds_bpermute_b32 v125, v1, v159
	s_wait_dscnt 0xa
	v_dual_add_f32 v98, v98, v100 :: v_dual_add_f32 v100, v101, v105
	v_dual_add_f32 v99, v99, v104 :: v_dual_add_f32 v101, v102, v106
	s_wait_dscnt 0x9
	v_dual_add_f32 v102, v103, v107 :: v_dual_cndmask_b32 v103, -v145, v145, s1
	v_dual_cndmask_b32 v104, -v146, v146, s1 :: v_dual_cndmask_b32 v105, -v147, v147, s1
	v_dual_cndmask_b32 v106, -v148, v148, s1 :: v_dual_cndmask_b32 v107, -v149, v149, s1
	ds_bpermute_b32 v113, v1, v150
	ds_bpermute_b32 v114, v1, v151
	s_wait_dscnt 0x9
	v_dual_add_f32 v103, v103, v108 :: v_dual_add_f32 v104, v104, v109
	s_wait_dscnt 0x7
	v_dual_add_f32 v105, v105, v110 :: v_dual_add_f32 v106, v106, v111
	s_wait_dscnt 0x6
	v_dual_add_f32 v107, v107, v112 :: v_dual_cndmask_b32 v108, -v150, v150, s1
	v_dual_cndmask_b32 v109, -v151, v151, s1 :: v_dual_cndmask_b32 v110, -v152, v152, s1
	v_dual_cndmask_b32 v111, -v153, v153, s1 :: v_dual_cndmask_b32 v112, -v154, v154, s1
	ds_store_b128 v126, v[128:131] offset:24576
	ds_store_b128 v126, v[132:135] offset:28672
	ds_bpermute_b32 v120, v1, v157
	ds_bpermute_b32 v121, v1, v158
	s_wait_dscnt 0x8
	v_dual_add_f32 v110, v110, v115 :: v_dual_add_f32 v111, v111, v116
	s_wait_dscnt 0x7
	v_dual_add_f32 v112, v112, v117 :: v_dual_cndmask_b32 v116, -v158, v158, s1
	v_cndmask_b32_e64 v117, -v159, v159, s1
	ds_bpermute_b32 v127, v1, v64
	ds_bpermute_b32 v128, v1, v65
	;; [unrolled: 1-line block ×5, first 2 shown]
	s_wait_dscnt 0xb
	v_dual_add_f32 v117, v117, v125 :: v_dual_cndmask_b32 v64, -v64, v64, s1
	ds_bpermute_b32 v125, v1, v73
	ds_bpermute_b32 v118, v1, v155
	;; [unrolled: 1-line block ×3, first 2 shown]
	s_wait_dscnt 0xc
	v_dual_add_f32 v108, v108, v113 :: v_dual_add_f32 v109, v109, v114
	v_dual_cndmask_b32 v114, -v156, v156, s1 :: v_dual_cndmask_b32 v115, -v157, v157, s1
	v_dual_cndmask_b32 v65, -v65, v65, s1 :: v_dual_cndmask_b32 v66, -v66, v66, s1
	;; [unrolled: 1-line block ×3, first 2 shown]
	s_wait_dscnt 0x8
	s_delay_alu instid0(VALU_DEP_3)
	v_dual_add_f32 v115, v115, v120 :: v_dual_add_f32 v116, v116, v121
	ds_bpermute_b32 v120, v1, v71
	ds_bpermute_b32 v121, v1, v72
	s_wait_dscnt 0x8
	v_dual_add_f32 v64, v64, v127 :: v_dual_add_f32 v65, v65, v128
	s_wait_dscnt 0x6
	v_dual_add_f32 v66, v66, v129 :: v_dual_add_f32 v67, v67, v130
	v_dual_cndmask_b32 v72, -v72, v72, s1 :: v_dual_cndmask_b32 v73, -v73, v73, s1
	ds_bpermute_b32 v127, v1, v74
	ds_bpermute_b32 v128, v1, v75
	ds_bpermute_b32 v129, v1, v76
	ds_bpermute_b32 v130, v1, v77
	s_wait_dscnt 0x9
	v_add_f32_e32 v68, v68, v131
	ds_bpermute_b32 v131, v1, v78
	s_wait_dscnt 0x9
	v_dual_add_f32 v73, v73, v125 :: v_dual_cndmask_b32 v74, -v74, v74, s1
	ds_bpermute_b32 v125, v1, v83
	v_cndmask_b32_e64 v113, -v155, v155, s1
	s_wait_dscnt 0x8
	v_add_f32_e32 v114, v114, v119
	ds_bpermute_b32 v119, v1, v70
	v_dual_cndmask_b32 v70, -v70, v70, s1 :: v_dual_cndmask_b32 v71, -v71, v71, s1
	v_dual_add_f32 v113, v113, v118 :: v_dual_cndmask_b32 v75, -v75, v75, s1
	v_dual_cndmask_b32 v76, -v76, v76, s1 :: v_dual_cndmask_b32 v77, -v77, v77, s1
	v_cndmask_b32_e64 v78, -v78, v78, s1
	s_wait_dscnt 0x0
	s_barrier_signal -1
	s_barrier_wait -1
	ds_load_b128 v[46:49], v124 offset:12288
	v_dual_add_f32 v71, v71, v120 :: v_dual_add_f32 v72, v72, v121
	ds_bpermute_b32 v121, v1, v82
	v_dual_add_f32 v74, v74, v127 :: v_dual_add_f32 v75, v75, v128
	v_dual_add_f32 v76, v76, v129 :: v_dual_add_f32 v77, v77, v130
	ds_bpermute_b32 v127, v1, v84
	ds_bpermute_b32 v128, v1, v85
	;; [unrolled: 1-line block ×4, first 2 shown]
	v_dual_cndmask_b32 v82, -v82, v82, s1 :: v_dual_cndmask_b32 v83, -v83, v83, s1
	v_add_f32_e32 v78, v78, v131
	ds_bpermute_b32 v131, v1, v89
	ds_bpermute_b32 v132, v1, v90
	;; [unrolled: 1-line block ×3, first 2 shown]
	v_dual_add_f32 v83, v83, v125 :: v_dual_cndmask_b32 v84, -v84, v84, s1
	ds_bpermute_b32 v125, v1, v88
	ds_bpermute_b32 v134, v1, v34
	ds_load_b128 v[54:57], v124 offset:16384
	ds_load_b128 v[50:53], v124 offset:20480
	;; [unrolled: 1-line block ×4, first 2 shown]
	v_dual_cndmask_b32 v85, -v85, v85, s1 :: v_dual_cndmask_b32 v86, -v86, v86, s1
	v_dual_cndmask_b32 v87, -v87, v87, s1 :: v_dual_cndmask_b32 v88, -v88, v88, s1
	;; [unrolled: 1-line block ×3, first 2 shown]
	s_wait_dscnt 0xa
	s_delay_alu instid0(VALU_DEP_3)
	v_dual_add_f32 v84, v84, v127 :: v_dual_add_f32 v86, v86, v129
	s_wait_dscnt 0x9
	v_dual_add_f32 v85, v85, v128 :: v_dual_add_f32 v87, v87, v130
	v_dual_cndmask_b32 v91, -v91, v91, s1 :: v_dual_cndmask_b32 v34, -v34, v34, s1
	ds_bpermute_b32 v127, v1, v35
	ds_bpermute_b32 v128, v1, v36
	;; [unrolled: 1-line block ×5, first 2 shown]
	s_wait_dscnt 0xa
	v_dual_add_f32 v88, v88, v125 :: v_dual_add_f32 v89, v89, v131
	v_dual_add_f32 v90, v90, v132 :: v_dual_add_f32 v91, v91, v133
	s_wait_dscnt 0x9
	v_dual_add_f32 v34, v34, v134 :: v_dual_cndmask_b32 v35, -v35, v35, s1
	ds_bpermute_b32 v125, v1, v48
	ds_bpermute_b32 v131, v1, v49
	s_wait_dscnt 0xa
	ds_bpermute_b32 v132, v1, v54
	ds_bpermute_b32 v133, v1, v55
	ds_bpermute_b32 v134, v1, v56
	v_dual_cndmask_b32 v36, -v36, v36, s1 :: v_dual_cndmask_b32 v37, -v37, v37, s1
	v_dual_cndmask_b32 v46, -v46, v46, s1 :: v_dual_cndmask_b32 v47, -v47, v47, s1
	s_wait_dscnt 0x8
	s_delay_alu instid0(VALU_DEP_2) | instskip(SKIP_1) | instid1(VALU_DEP_2)
	v_dual_add_f32 v35, v35, v127 :: v_dual_add_f32 v36, v36, v128
	s_wait_dscnt 0x6
	v_dual_add_f32 v37, v37, v129 :: v_dual_add_f32 v46, v46, v130
	s_wait_dscnt 0x5
	v_dual_add_f32 v47, v47, v135 :: v_dual_cndmask_b32 v48, -v48, v48, s1
	v_dual_cndmask_b32 v49, -v49, v49, s1 :: v_dual_cndmask_b32 v54, -v54, v54, s1
	v_dual_cndmask_b32 v55, -v55, v55, s1 :: v_dual_cndmask_b32 v56, -v56, v56, s1
	ds_bpermute_b32 v127, v1, v57
	ds_bpermute_b32 v128, v1, v50
	ds_bpermute_b32 v129, v1, v51
	ds_bpermute_b32 v130, v1, v52
	ds_bpermute_b32 v135, v1, v53
	s_wait_dscnt 0x8
	v_dual_add_f32 v48, v48, v125 :: v_dual_add_f32 v49, v49, v131
	s_wait_dscnt 0x6
	v_dual_add_f32 v54, v54, v132 :: v_dual_add_f32 v55, v55, v133
	s_wait_dscnt 0x5
	v_dual_add_f32 v56, v56, v134 :: v_dual_cndmask_b32 v57, -v57, v57, s1
	ds_bpermute_b32 v125, v1, v42
	ds_bpermute_b32 v131, v1, v43
	ds_bpermute_b32 v132, v1, v44
	ds_bpermute_b32 v133, v1, v45
	ds_bpermute_b32 v134, v1, v38
	v_dual_cndmask_b32 v50, -v50, v50, s1 :: v_dual_cndmask_b32 v51, -v51, v51, s1
	v_dual_cndmask_b32 v52, -v52, v52, s1 :: v_dual_cndmask_b32 v53, -v53, v53, s1
	s_wait_dscnt 0x8
	s_delay_alu instid0(VALU_DEP_2) | instskip(SKIP_1) | instid1(VALU_DEP_2)
	v_dual_add_f32 v57, v57, v127 :: v_dual_add_f32 v50, v50, v128
	s_wait_dscnt 0x6
	v_dual_add_f32 v51, v51, v129 :: v_dual_add_f32 v52, v52, v130
	s_wait_dscnt 0x5
	v_dual_add_f32 v53, v53, v135 :: v_dual_cndmask_b32 v42, -v42, v42, s1
	v_dual_cndmask_b32 v43, -v43, v43, s1 :: v_dual_cndmask_b32 v44, -v44, v44, s1
	v_dual_cndmask_b32 v45, -v45, v45, s1 :: v_dual_cndmask_b32 v38, -v38, v38, s1
	ds_bpermute_b32 v127, v1, v39
	ds_bpermute_b32 v128, v1, v40
	ds_bpermute_b32 v129, v1, v41
	ds_bpermute_b32 v130, v122, v92
	ds_bpermute_b32 v135, v122, v93
	s_wait_dscnt 0x8
	v_dual_add_f32 v42, v42, v125 :: v_dual_add_f32 v43, v43, v131
	s_wait_dscnt 0x6
	v_dual_add_f32 v44, v44, v132 :: v_dual_add_f32 v45, v45, v133
	s_wait_dscnt 0x5
	v_dual_add_f32 v38, v38, v134 :: v_dual_cndmask_b32 v39, -v39, v39, s1
	ds_bpermute_b32 v125, v122, v58
	ds_bpermute_b32 v131, v122, v59
	;; [unrolled: 27-line block ×4, first 2 shown]
	ds_bpermute_b32 v132, v122, v110
	ds_bpermute_b32 v133, v122, v111
	;; [unrolled: 1-line block ×4, first 2 shown]
	v_dual_cndmask_b32 v104, -v104, v104, s33 :: v_dual_cndmask_b32 v105, -v105, v105, s33
	v_dual_cndmask_b32 v106, -v106, v106, s33 :: v_dual_cndmask_b32 v107, -v107, v107, s33
	s_wait_dscnt 0x9
	s_delay_alu instid0(VALU_DEP_2) | instskip(SKIP_1) | instid1(VALU_DEP_2)
	v_dual_add_f32 v103, v103, v127 :: v_dual_add_f32 v104, v104, v128
	s_wait_dscnt 0x7
	v_dual_add_f32 v105, v105, v129 :: v_dual_add_f32 v106, v106, v130
	s_wait_dscnt 0x6
	v_dual_add_f32 v107, v107, v135 :: v_dual_cndmask_b32 v108, -v108, v108, s33
	v_dual_cndmask_b32 v109, -v109, v109, s33 :: v_dual_cndmask_b32 v110, -v110, v110, s33
	v_dual_cndmask_b32 v111, -v111, v111, s33 :: v_dual_cndmask_b32 v112, -v112, v112, s33
	ds_bpermute_b32 v127, v122, v113
	ds_bpermute_b32 v128, v122, v114
	;; [unrolled: 1-line block ×5, first 2 shown]
	v_cndmask_b32_e64 v69, -v69, v69, s1
	s_wait_dscnt 0x9
	v_dual_add_f32 v108, v108, v125 :: v_dual_add_f32 v109, v109, v131
	s_wait_dscnt 0x7
	v_dual_add_f32 v110, v110, v132 :: v_dual_add_f32 v111, v111, v133
	s_wait_dscnt 0x6
	v_dual_add_f32 v112, v112, v134 :: v_dual_cndmask_b32 v113, -v113, v113, s33
	ds_bpermute_b32 v125, v122, v64
	ds_bpermute_b32 v131, v122, v65
	;; [unrolled: 1-line block ×5, first 2 shown]
	s_wait_dscnt 0xa
	v_dual_add_f32 v69, v69, v118 :: v_dual_add_f32 v70, v70, v119
	ds_bpermute_b32 v118, v1, v79
	ds_bpermute_b32 v119, v1, v80
	;; [unrolled: 1-line block ×3, first 2 shown]
	v_dual_cndmask_b32 v114, -v114, v114, s33 :: v_dual_cndmask_b32 v115, -v115, v115, s33
	v_dual_cndmask_b32 v116, -v116, v116, s33 :: v_dual_cndmask_b32 v117, -v117, v117, s33
	s_wait_dscnt 0xb
	s_delay_alu instid0(VALU_DEP_2) | instskip(SKIP_1) | instid1(VALU_DEP_2)
	v_dual_add_f32 v113, v113, v127 :: v_dual_add_f32 v114, v114, v128
	s_wait_dscnt 0x9
	v_dual_add_f32 v115, v115, v129 :: v_dual_add_f32 v116, v116, v130
	s_wait_dscnt 0x8
	v_dual_add_f32 v117, v117, v135 :: v_dual_cndmask_b32 v64, -v64, v64, s33
	v_dual_cndmask_b32 v65, -v65, v65, s33 :: v_dual_cndmask_b32 v66, -v66, v66, s33
	v_dual_cndmask_b32 v67, -v67, v67, s33 :: v_dual_cndmask_b32 v68, -v68, v68, s33
	ds_bpermute_b32 v127, v122, v69
	ds_bpermute_b32 v128, v122, v70
	;; [unrolled: 1-line block ×5, first 2 shown]
	v_cndmask_b32_e64 v80, -v80, v80, s1
	s_wait_dscnt 0xb
	v_dual_add_f32 v125, v64, v125 :: v_dual_add_f32 v131, v65, v131
	s_wait_dscnt 0x9
	v_dual_add_f32 v66, v66, v132 :: v_dual_add_f32 v67, v67, v133
	s_wait_dscnt 0x8
	v_dual_add_f32 v68, v68, v134 :: v_dual_cndmask_b32 v64, -v69, v69, s33
	v_dual_cndmask_b32 v65, -v70, v70, s33 :: v_dual_cndmask_b32 v69, -v71, v71, s33
	v_dual_cndmask_b32 v70, -v72, v72, s33 :: v_dual_cndmask_b32 v71, -v73, v73, s33
	ds_bpermute_b32 v72, v122, v74
	ds_bpermute_b32 v73, v122, v75
	;; [unrolled: 1-line block ×5, first 2 shown]
	v_dual_cndmask_b32 v79, -v79, v79, s1 :: v_dual_cndmask_b32 v81, -v81, v81, s1
	s_wait_dscnt 0xb
	v_dual_add_f32 v80, v80, v119 :: v_dual_add_f32 v82, v82, v121
	s_wait_dscnt 0x8
	v_dual_add_f32 v127, v64, v127 :: v_dual_add_f32 v128, v65, v128
	v_dual_add_f32 v79, v79, v118 :: v_dual_add_f32 v81, v81, v120
	s_wait_dscnt 0x6
	v_dual_add_f32 v69, v69, v129 :: v_dual_add_f32 v70, v70, v130
	s_wait_dscnt 0x5
	v_dual_add_f32 v71, v71, v135 :: v_dual_cndmask_b32 v64, -v74, v74, s33
	v_dual_cndmask_b32 v65, -v75, v75, s33 :: v_dual_cndmask_b32 v74, -v76, v76, s33
	v_dual_cndmask_b32 v75, -v77, v77, s33 :: v_dual_cndmask_b32 v76, -v78, v78, s33
	ds_bpermute_b32 v77, v122, v79
	ds_bpermute_b32 v78, v122, v80
	ds_bpermute_b32 v129, v122, v81
	ds_bpermute_b32 v130, v122, v82
	ds_bpermute_b32 v135, v122, v83
	s_wait_dscnt 0x8
	v_dual_add_f32 v72, v64, v72 :: v_dual_add_f32 v73, v65, v73
	s_wait_dscnt 0x6
	v_dual_add_f32 v132, v74, v132 :: v_dual_add_f32 v133, v75, v133
	s_wait_dscnt 0x5
	v_dual_add_f32 v134, v76, v134 :: v_dual_cndmask_b32 v64, -v79, v79, s33
	v_dual_cndmask_b32 v65, -v80, v80, s33 :: v_dual_cndmask_b32 v74, -v81, v81, s33
	v_dual_cndmask_b32 v75, -v82, v82, s33 :: v_dual_cndmask_b32 v76, -v83, v83, s33
	ds_bpermute_b32 v79, v122, v84
	ds_bpermute_b32 v80, v122, v85
	ds_bpermute_b32 v81, v122, v86
	ds_bpermute_b32 v82, v122, v87
	ds_bpermute_b32 v83, v122, v88
	s_wait_dscnt 0x8
	;; [unrolled: 13-line block ×3, first 2 shown]
	v_dual_add_f32 v137, v64, v79 :: v_dual_add_f32 v138, v65, v80
	s_wait_dscnt 0x6
	v_dual_add_f32 v139, v74, v81 :: v_dual_add_f32 v140, v75, v82
	s_wait_dscnt 0x5
	v_dual_add_f32 v141, v76, v83 :: v_dual_cndmask_b32 v64, -v89, v89, s33
	ds_bpermute_b32 v75, v122, v36
	ds_bpermute_b32 v76, v122, v37
	;; [unrolled: 1-line block ×5, first 2 shown]
	v_dual_cndmask_b32 v65, -v90, v90, s33 :: v_dual_cndmask_b32 v74, -v91, v91, s33
	v_dual_cndmask_b32 v34, -v34, v34, s33 :: v_dual_cndmask_b32 v35, -v35, v35, s33
	s_wait_dscnt 0x8
	s_delay_alu instid0(VALU_DEP_2)
	v_dual_add_f32 v90, v64, v78 :: v_dual_add_f32 v91, v65, v84
	s_wait_dscnt 0x7
	v_add_f32_e32 v142, v74, v85
	s_wait_dscnt 0x6
	v_dual_add_f32 v143, v34, v86 :: v_dual_cndmask_b32 v34, -v36, v36, s33
	s_wait_dscnt 0x5
	v_dual_add_f32 v144, v35, v87 :: v_dual_cndmask_b32 v35, -v37, v37, s33
	v_dual_cndmask_b32 v36, -v46, v46, s33 :: v_dual_cndmask_b32 v37, -v47, v47, s33
	v_cndmask_b32_e64 v46, -v48, v48, s33
	ds_bpermute_b32 v47, v122, v49
	ds_bpermute_b32 v48, v122, v54
	ds_bpermute_b32 v64, v122, v55
	ds_bpermute_b32 v65, v122, v56
	ds_bpermute_b32 v74, v122, v57
	s_wait_dscnt 0x8
	v_dual_add_f32 v145, v34, v75 :: v_dual_add_f32 v146, v35, v76
	s_wait_dscnt 0x6
	v_dual_add_f32 v147, v36, v79 :: v_dual_add_f32 v148, v37, v80
	s_wait_dscnt 0x5
	v_dual_add_f32 v149, v46, v81 :: v_dual_cndmask_b32 v36, -v55, v55, s33
	v_dual_cndmask_b32 v34, -v49, v49, s33 :: v_dual_cndmask_b32 v35, -v54, v54, s33
	v_dual_cndmask_b32 v37, -v56, v56, s33 :: v_dual_cndmask_b32 v46, -v57, v57, s33
	ds_bpermute_b32 v49, v122, v50
	ds_bpermute_b32 v54, v122, v51
	ds_bpermute_b32 v55, v122, v52
	ds_bpermute_b32 v56, v122, v53
	ds_bpermute_b32 v57, v122, v42
	s_wait_dscnt 0x8
	v_dual_add_f32 v150, v34, v47 :: v_dual_add_f32 v151, v35, v48
	s_wait_dscnt 0x6
	v_dual_add_f32 v152, v36, v64 :: v_dual_add_f32 v153, v37, v65
	s_wait_dscnt 0x5
	v_dual_add_f32 v154, v46, v74 :: v_dual_cndmask_b32 v35, -v51, v51, s33
	v_dual_cndmask_b32 v34, -v50, v50, s33 :: v_dual_cndmask_b32 v36, -v52, v52, s33
	v_dual_cndmask_b32 v37, -v53, v53, s33 :: v_dual_cndmask_b32 v42, -v42, v42, s33
	;; [unrolled: 13-line block ×4, first 2 shown]
	ds_bpermute_b32 v40, v123, v59
	ds_bpermute_b32 v41, v123, v60
	;; [unrolled: 1-line block ×5, first 2 shown]
	s_wait_dscnt 0x8
	v_dual_add_f32 v165, v34, v39 :: v_dual_add_f32 v166, v35, v42
	s_wait_dscnt 0x6
	v_dual_add_f32 v34, v36, v43 :: v_dual_add_f32 v35, v37, v44
	s_wait_dscnt 0x5
	v_dual_add_f32 v36, v38, v45 :: v_dual_cndmask_b32 v37, -v59, v59, s34
	ds_bpermute_b32 v44, v123, v94
	ds_bpermute_b32 v45, v123, v95
	;; [unrolled: 1-line block ×5, first 2 shown]
	v_dual_cndmask_b32 v38, -v60, v60, s34 :: v_dual_cndmask_b32 v39, -v61, v61, s34
	v_dual_cndmask_b32 v42, -v62, v62, s34 :: v_dual_cndmask_b32 v43, -v63, v63, s34
	s_wait_dscnt 0x8
	s_delay_alu instid0(VALU_DEP_2) | instskip(SKIP_1) | instid1(VALU_DEP_2)
	v_dual_add_f32 v37, v37, v40 :: v_dual_add_f32 v46, v38, v41
	s_wait_dscnt 0x6
	v_dual_add_f32 v47, v39, v47 :: v_dual_add_f32 v48, v42, v48
	s_wait_dscnt 0x5
	v_dual_add_f32 v49, v43, v49 :: v_dual_cndmask_b32 v38, -v94, v94, s34
	v_dual_cndmask_b32 v39, -v95, v95, s34 :: v_dual_cndmask_b32 v40, -v96, v96, s34
	v_dual_cndmask_b32 v41, -v97, v97, s34 :: v_dual_cndmask_b32 v42, -v98, v98, s34
	ds_bpermute_b32 v43, v123, v99
	ds_bpermute_b32 v53, v123, v100
	;; [unrolled: 1-line block ×5, first 2 shown]
	s_wait_dscnt 0x8
	v_dual_add_f32 v62, v38, v44 :: v_dual_add_f32 v63, v39, v45
	s_wait_dscnt 0x6
	v_dual_add_f32 v64, v40, v50 :: v_dual_add_f32 v65, v41, v51
	s_wait_dscnt 0x5
	v_dual_add_f32 v58, v42, v52 :: v_dual_cndmask_b32 v38, -v99, v99, s34
	ds_bpermute_b32 v44, v123, v104
	ds_bpermute_b32 v45, v123, v105
	;; [unrolled: 1-line block ×5, first 2 shown]
	v_dual_cndmask_b32 v39, -v100, v100, s34 :: v_dual_cndmask_b32 v40, -v101, v101, s34
	v_dual_cndmask_b32 v41, -v102, v102, s34 :: v_dual_cndmask_b32 v42, -v103, v103, s34
	s_wait_dscnt 0x8
	s_delay_alu instid0(VALU_DEP_2) | instskip(SKIP_1) | instid1(VALU_DEP_2)
	v_dual_add_f32 v59, v38, v43 :: v_dual_add_f32 v60, v39, v53
	s_wait_dscnt 0x6
	v_dual_add_f32 v61, v40, v54 :: v_dual_add_f32 v78, v41, v55
	s_wait_dscnt 0x5
	v_dual_add_f32 v79, v42, v56 :: v_dual_cndmask_b32 v39, -v105, v105, s34
	v_dual_cndmask_b32 v38, -v104, v104, s34 :: v_dual_cndmask_b32 v40, -v106, v106, s34
	v_dual_cndmask_b32 v41, -v107, v107, s34 :: v_dual_cndmask_b32 v42, -v108, v108, s34
	ds_bpermute_b32 v43, v123, v109
	ds_bpermute_b32 v53, v123, v110
	;; [unrolled: 1-line block ×5, first 2 shown]
	s_wait_dscnt 0x8
	v_dual_add_f32 v80, v38, v44 :: v_dual_add_f32 v81, v39, v45
	s_wait_dscnt 0x6
	v_dual_add_f32 v86, v40, v50 :: v_dual_add_f32 v87, v41, v51
	s_wait_dscnt 0x5
	v_dual_add_f32 v88, v42, v52 :: v_dual_cndmask_b32 v38, -v109, v109, s34
	ds_bpermute_b32 v44, v123, v114
	ds_bpermute_b32 v45, v123, v115
	;; [unrolled: 1-line block ×5, first 2 shown]
	v_dual_cndmask_b32 v39, -v110, v110, s34 :: v_dual_cndmask_b32 v40, -v111, v111, s34
	v_dual_cndmask_b32 v41, -v112, v112, s34 :: v_dual_cndmask_b32 v42, -v113, v113, s34
	s_wait_dscnt 0x8
	s_delay_alu instid0(VALU_DEP_2) | instskip(SKIP_1) | instid1(VALU_DEP_2)
	v_dual_add_f32 v89, v38, v43 :: v_dual_add_f32 v102, v39, v53
	s_wait_dscnt 0x6
	v_dual_add_f32 v103, v40, v54 :: v_dual_add_f32 v104, v41, v55
	s_wait_dscnt 0x5
	v_dual_add_f32 v105, v42, v56 :: v_dual_cndmask_b32 v39, -v115, v115, s34
	v_dual_cndmask_b32 v38, -v114, v114, s34 :: v_dual_cndmask_b32 v40, -v116, v116, s34
	v_cndmask_b32_e64 v41, -v117, v117, s34
	v_cndmask_b32_e64 v42, -v125, v125, s34
	ds_bpermute_b32 v43, v123, v131
	ds_bpermute_b32 v53, v123, v66
	;; [unrolled: 1-line block ×5, first 2 shown]
	s_wait_dscnt 0x8
	v_dual_add_f32 v110, v38, v44 :: v_dual_add_f32 v111, v39, v45
	s_wait_dscnt 0x6
	v_dual_add_f32 v113, v41, v51 :: v_dual_add_f32 v112, v40, v50
	s_wait_dscnt 0x5
	v_dual_add_f32 v42, v42, v52 :: v_dual_cndmask_b32 v38, -v131, v131, s34
	v_dual_cndmask_b32 v39, -v66, v66, s34 :: v_dual_cndmask_b32 v40, -v67, v67, s34
	v_dual_cndmask_b32 v41, -v68, v68, s34 :: v_dual_cndmask_b32 v50, -v127, v127, s34
	ds_bpermute_b32 v51, v123, v128
	ds_bpermute_b32 v52, v123, v69
	ds_bpermute_b32 v66, v123, v70
	ds_bpermute_b32 v67, v123, v71
	ds_bpermute_b32 v68, v123, v72
	s_wait_dscnt 0x8
	v_dual_add_f32 v43, v38, v43 :: v_dual_add_f32 v44, v39, v53
	s_wait_dscnt 0x6
	v_dual_add_f32 v45, v40, v54 :: v_dual_add_f32 v54, v41, v55
	s_wait_dscnt 0x5
	v_dual_add_f32 v55, v50, v56 :: v_dual_cndmask_b32 v39, -v69, v69, s34
	v_dual_cndmask_b32 v38, -v128, v128, s34 :: v_dual_cndmask_b32 v40, -v70, v70, s34
	v_dual_cndmask_b32 v41, -v71, v71, s34 :: v_dual_cndmask_b32 v50, -v72, v72, s34
	ds_bpermute_b32 v53, v123, v73
	ds_bpermute_b32 v69, v123, v132
	;; [unrolled: 1-line block ×5, first 2 shown]
	s_wait_dscnt 0x8
	v_dual_add_f32 v56, v38, v51 :: v_dual_add_f32 v57, v39, v52
	s_wait_dscnt 0x6
	v_dual_add_f32 v74, v40, v66 :: v_dual_add_f32 v75, v41, v67
	s_wait_dscnt 0x5
	v_dual_add_f32 v76, v50, v68 :: v_dual_cndmask_b32 v38, -v73, v73, s34
	ds_bpermute_b32 v51, v123, v136
	ds_bpermute_b32 v52, v123, v129
	;; [unrolled: 1-line block ×5, first 2 shown]
	v_dual_cndmask_b32 v39, -v132, v132, s34 :: v_dual_cndmask_b32 v40, -v133, v133, s34
	v_dual_cndmask_b32 v41, -v134, v134, s34 :: v_dual_cndmask_b32 v50, -v77, v77, s34
	s_wait_dscnt 0x9
	v_add_f32_e32 v77, v38, v53
	s_wait_dscnt 0x7
	v_dual_add_f32 v82, v39, v69 :: v_dual_add_f32 v83, v40, v70
	s_wait_dscnt 0x5
	v_dual_add_f32 v84, v41, v71 :: v_dual_add_f32 v85, v50, v72
	v_dual_cndmask_b32 v39, -v129, v129, s34 :: v_dual_cndmask_b32 v38, -v136, v136, s34
	v_dual_cndmask_b32 v40, -v130, v130, s34 :: v_dual_cndmask_b32 v41, -v135, v135, s34
	v_cndmask_b32_e64 v50, -v137, v137, s34
	ds_bpermute_b32 v53, v123, v138
	ds_bpermute_b32 v69, v123, v139
	;; [unrolled: 1-line block ×5, first 2 shown]
	s_wait_dscnt 0x8
	v_dual_add_f32 v98, v38, v51 :: v_dual_add_f32 v99, v39, v52
	s_wait_dscnt 0x6
	v_dual_add_f32 v100, v40, v66 :: v_dual_add_f32 v101, v41, v67
	s_wait_dscnt 0x5
	v_dual_add_f32 v94, v50, v68 :: v_dual_cndmask_b32 v39, -v139, v139, s34
	ds_bpermute_b32 v50, v123, v91
	ds_bpermute_b32 v51, v123, v142
	ds_bpermute_b32 v52, v123, v143
	ds_bpermute_b32 v66, v123, v144
	ds_bpermute_b32 v67, v123, v145
	v_dual_cndmask_b32 v38, -v138, v138, s34 :: v_dual_cndmask_b32 v40, -v140, v140, s34
	v_dual_cndmask_b32 v41, -v141, v141, s34 :: v_dual_cndmask_b32 v68, -v90, v90, s34
	ds_bpermute_b32 v73, v123, v157
	s_wait_dscnt 0x8
	v_dual_add_f32 v95, v38, v53 :: v_dual_add_f32 v97, v40, v70
	s_wait_dscnt 0x7
	v_dual_add_f32 v96, v39, v69 :: v_dual_add_f32 v106, v41, v71
	s_wait_dscnt 0x6
	v_dual_add_f32 v107, v68, v72 :: v_dual_cndmask_b32 v38, -v91, v91, s34
	v_dual_cndmask_b32 v39, -v142, v142, s34 :: v_dual_cndmask_b32 v40, -v143, v143, s34
	ds_bpermute_b32 v41, v123, v146
	ds_bpermute_b32 v53, v123, v147
	;; [unrolled: 1-line block ×4, first 2 shown]
	v_dual_cndmask_b32 v70, -v144, v144, s34 :: v_dual_cndmask_b32 v71, -v145, v145, s34
	s_wait_dscnt 0x8
	v_dual_add_f32 v108, v38, v50 :: v_dual_add_f32 v109, v39, v51
	s_wait_dscnt 0x6
	s_delay_alu instid0(VALU_DEP_2)
	v_dual_add_f32 v114, v40, v52 :: v_dual_add_f32 v115, v70, v66
	s_wait_dscnt 0x5
	v_dual_add_f32 v116, v71, v67 :: v_dual_cndmask_b32 v38, -v146, v146, s34
	ds_bpermute_b32 v51, v123, v150
	ds_bpermute_b32 v52, v123, v151
	;; [unrolled: 1-line block ×5, first 2 shown]
	ds_load_b128 v[90:93], v124
	ds_load_b128 v[128:131], v124 offset:4096
	v_dual_cndmask_b32 v39, -v147, v147, s34 :: v_dual_cndmask_b32 v40, -v148, v148, s34
	v_cndmask_b32_e64 v50, -v149, v149, s34
	ds_bpermute_b32 v71, v123, v155
	ds_bpermute_b32 v72, v123, v156
	;; [unrolled: 1-line block ×3, first 2 shown]
	s_wait_dscnt 0xd
	v_add_f32_e32 v117, v38, v41
	s_wait_dscnt 0xc
	v_dual_add_f32 v38, v39, v53 :: v_dual_cndmask_b32 v41, -v150, v150, s34
	s_wait_dscnt 0xa
	v_dual_add_f32 v39, v40, v68 :: v_dual_add_f32 v40, v50, v69
	v_dual_cndmask_b32 v53, -v152, v152, s34 :: v_dual_cndmask_b32 v50, -v151, v151, s34
	v_dual_cndmask_b32 v68, -v153, v153, s34 :: v_dual_cndmask_b32 v69, -v154, v154, s34
	ds_bpermute_b32 v127, v123, v159
	s_wait_dscnt 0x9
	v_dual_add_f32 v41, v41, v51 :: v_dual_add_f32 v50, v50, v52
	s_wait_dscnt 0x7
	v_dual_add_f32 v51, v53, v66 :: v_dual_add_f32 v52, v68, v67
	s_wait_dscnt 0x6
	v_dual_add_f32 v53, v69, v70 :: v_dual_cndmask_b32 v66, -v155, v155, s34
	s_wait_dscnt 0x5
	ds_bpermute_b32 v68, v1, v90
	ds_bpermute_b32 v69, v1, v91
	;; [unrolled: 1-line block ×4, first 2 shown]
	v_dual_cndmask_b32 v67, -v156, v156, s34 :: v_dual_cndmask_b32 v134, -v157, v157, s34
	v_dual_cndmask_b32 v135, -v158, v158, s34 :: v_dual_cndmask_b32 v136, -v159, v159, s34
	s_wait_dscnt 0x6
	s_delay_alu instid0(VALU_DEP_2) | instskip(NEXT) | instid1(VALU_DEP_3)
	v_dual_add_f32 v70, v66, v71 :: v_dual_add_f32 v71, v67, v72
	v_add_f32_e32 v72, v134, v73
	s_wait_dscnt 0x5
	v_dual_add_f32 v73, v135, v125 :: v_dual_cndmask_b32 v90, -v90, v90, s1
	ds_bpermute_b32 v67, v123, v160
	ds_bpermute_b32 v125, v123, v161
	;; [unrolled: 1-line block ×3, first 2 shown]
	v_dual_cndmask_b32 v91, -v91, v91, s1 :: v_dual_cndmask_b32 v93, -v93, v93, s1
	v_dual_cndmask_b32 v92, -v92, v92, s1 :: v_dual_cndmask_b32 v140, -v161, v161, s34
	ds_load_b128 v[118:121], v124 offset:8192
	s_wait_dscnt 0x8
	v_add_f32_e32 v66, v136, v127
	ds_bpermute_b32 v127, v123, v162
	s_wait_dscnt 0x7
	v_pk_add_f32 v[134:135], v[90:91], v[68:69]
	s_wait_dscnt 0x5
	v_pk_add_f32 v[92:93], v[92:93], v[132:133]
	v_dual_cndmask_b32 v139, -v160, v160, s34 :: v_dual_cndmask_b32 v69, -v162, v162, s34
	v_cndmask_b32_e64 v90, -v163, v163, s34
	ds_bpermute_b32 v132, v122, v134
	ds_bpermute_b32 v133, v122, v135
	;; [unrolled: 1-line block ×6, first 2 shown]
	s_wait_dscnt 0x9
	v_dual_add_f32 v68, v140, v125 :: v_dual_add_f32 v67, v139, v67
	s_wait_dscnt 0x8
	v_add_f32_e32 v90, v90, v138
	ds_bpermute_b32 v138, v1, v128
	ds_bpermute_b32 v139, v1, v129
	;; [unrolled: 1-line block ×3, first 2 shown]
	v_dual_cndmask_b32 v135, -v135, v135, s33 :: v_dual_cndmask_b32 v134, -v134, v134, s33
	s_wait_dscnt 0x9
	v_dual_add_f32 v69, v69, v127 :: v_dual_cndmask_b32 v125, -v164, v164, s34
	v_dual_cndmask_b32 v93, -v93, v93, s33 :: v_dual_cndmask_b32 v92, -v92, v92, s33
	v_dual_cndmask_b32 v127, -v165, v165, s34 :: v_dual_cndmask_b32 v144, -v166, v166, s34
	ds_bpermute_b32 v146, v1, v120
	ds_bpermute_b32 v147, v1, v121
	s_wait_dscnt 0x9
	v_pk_add_f32 v[132:133], v[134:135], v[132:133]
	s_wait_dscnt 0x7
	v_pk_add_f32 v[134:135], v[92:93], v[136:137]
	s_wait_dscnt 0x6
	v_dual_add_f32 v93, v144, v143 :: v_dual_cndmask_b32 v129, -v129, v129, s1
	v_dual_cndmask_b32 v128, -v128, v128, s1 :: v_dual_cndmask_b32 v131, -v131, v131, s1
	v_cndmask_b32_e64 v130, -v130, v130, s1
	ds_bpermute_b32 v144, v1, v118
	ds_bpermute_b32 v145, v1, v119
	;; [unrolled: 1-line block ×5, first 2 shown]
	v_cndmask_b32_e64 v133, -v133, v133, s34
	s_wait_dscnt 0x8
	v_pk_add_f32 v[128:129], v[128:129], v[138:139]
	s_wait_dscnt 0x7
	v_pk_add_f32 v[130:131], v[130:131], v[140:141]
	s_wait_dscnt 0x0
	s_barrier_signal -1
	s_barrier_wait -1
	ds_store_b128 v126, v[2:5]
	ds_store_b128 v126, v[10:13] offset:4096
	ds_store_b128 v126, v[6:9] offset:8192
	;; [unrolled: 1-line block ×7, first 2 shown]
	s_wait_dscnt 0x0
	s_barrier_signal -1
	s_barrier_wait -1
	ds_load_b128 v[6:9], v124
	ds_load_b128 v[14:17], v124 offset:4096
	ds_bpermute_b32 v138, v122, v128
	ds_bpermute_b32 v139, v122, v129
	;; [unrolled: 1-line block ×3, first 2 shown]
	v_dual_cndmask_b32 v131, -v131, v131, s33 :: v_dual_cndmask_b32 v121, -v121, v121, s1
	v_dual_cndmask_b32 v120, -v120, v120, s1 :: v_dual_cndmask_b32 v3, -v119, v119, s1
	ds_bpermute_b32 v140, v122, v130
	v_dual_cndmask_b32 v2, -v118, v118, s1 :: v_dual_cndmask_b32 v128, -v128, v128, s33
	v_pk_add_f32 v[10:11], v[120:121], v[146:147]
	v_dual_add_f32 v91, v125, v91 :: v_dual_add_f32 v92, v127, v142
	s_delay_alu instid0(VALU_DEP_3)
	v_pk_add_f32 v[12:13], v[2:3], v[144:145]
	ds_bpermute_b32 v142, v123, v134
	ds_bpermute_b32 v22, v122, v10
	;; [unrolled: 1-line block ×3, first 2 shown]
	v_dual_cndmask_b32 v134, -v134, v134, s34 :: v_dual_cndmask_b32 v129, -v129, v129, s33
	ds_bpermute_b32 v24, v122, v12
	ds_bpermute_b32 v25, v122, v13
	s_wait_dscnt 0xa
	ds_bpermute_b32 v30, v1, v6
	ds_bpermute_b32 v31, v1, v7
	s_wait_dscnt 0x9
	v_pk_add_f32 v[20:21], v[128:129], v[138:139]
	v_cndmask_b32_e64 v130, -v130, v130, s33
	ds_bpermute_b32 v136, v123, v132
	v_dual_cndmask_b32 v11, -v11, v11, s33 :: v_dual_cndmask_b32 v10, -v10, v10, s33
	ds_bpermute_b32 v27, v123, v21
	v_cndmask_b32_e64 v21, -v21, v21, s34
	s_wait_dscnt 0x9
	v_pk_add_f32 v[18:19], v[130:131], v[140:141]
	ds_bpermute_b32 v32, v1, v8
	ds_bpermute_b32 v33, v1, v9
	v_dual_cndmask_b32 v13, -v13, v13, s33 :: v_dual_cndmask_b32 v12, -v12, v12, s33
	ds_bpermute_b32 v28, v123, v18
	s_wait_dscnt 0x9
	v_pk_add_f32 v[10:11], v[10:11], v[22:23]
	v_dual_cndmask_b32 v18, -v18, v18, s34 :: v_dual_cndmask_b32 v7, -v7, v7, s1
	v_dual_cndmask_b32 v6, -v6, v6, s1 :: v_dual_cndmask_b32 v9, -v9, v9, s1
	ds_bpermute_b32 v26, v123, v20
	ds_bpermute_b32 v29, v123, v19
	s_wait_dscnt 0x9
	v_pk_add_f32 v[22:23], v[12:13], v[24:25]
	ds_bpermute_b32 v24, v123, v10
	ds_bpermute_b32 v25, v123, v11
	s_wait_dscnt 0x9
	v_pk_add_f32 v[6:7], v[6:7], v[30:31]
	v_cndmask_b32_e64 v132, -v132, v132, s34
	ds_bpermute_b32 v128, v1, v16
	ds_bpermute_b32 v129, v1, v17
	;; [unrolled: 1-line block ×5, first 2 shown]
	v_cndmask_b32_e64 v135, -v135, v135, s34
	s_wait_dscnt 0xd
	v_pk_add_f32 v[2:3], v[132:133], v[136:137]
	v_dual_cndmask_b32 v8, -v8, v8, s1 :: v_dual_cndmask_b32 v119, -v11, v11, s34
	ds_bpermute_b32 v30, v123, v22
	ds_bpermute_b32 v31, v123, v23
	;; [unrolled: 1-line block ×4, first 2 shown]
	v_dual_cndmask_b32 v20, -v20, v20, s34 :: v_dual_cndmask_b32 v19, -v19, v19, s34
	s_wait_dscnt 0xe
	v_pk_add_f32 v[32:33], v[8:9], v[32:33]
	v_dual_cndmask_b32 v118, -v10, v10, s34 :: v_dual_cndmask_b32 v23, -v23, v23, s34
	s_wait_dscnt 0xc
	v_pk_add_f32 v[10:11], v[20:21], v[26:27]
	s_wait_dscnt 0xb
	v_pk_add_f32 v[12:13], v[18:19], v[28:29]
	ds_bpermute_b32 v130, v122, v32
	ds_bpermute_b32 v131, v122, v33
	v_cndmask_b32_e64 v22, -v22, v22, s34
	s_wait_dscnt 0xb
	v_pk_add_f32 v[8:9], v[118:119], v[24:25]
	v_cndmask_b32_e64 v25, -v7, v7, s33
	ds_load_b128 v[18:21], v124 offset:8192
	v_dual_cndmask_b32 v24, -v6, v6, s33 :: v_dual_cndmask_b32 v7, -v17, v17, s1
	v_dual_cndmask_b32 v6, -v16, v16, s1 :: v_dual_cndmask_b32 v17, -v33, v33, s33
	;; [unrolled: 1-line block ×3, first 2 shown]
	s_wait_dscnt 0x7
	s_delay_alu instid0(VALU_DEP_3)
	v_pk_add_f32 v[28:29], v[24:25], v[120:121]
	v_cndmask_b32_e64 v14, -v14, v14, s1
	v_pk_add_f32 v[26:27], v[6:7], v[128:129]
	s_wait_dscnt 0x5
	v_pk_add_f32 v[6:7], v[22:23], v[30:31]
	ds_load_b128 v[22:25], v124 offset:12288
	ds_bpermute_b32 v33, v123, v29
	v_cndmask_b32_e64 v29, -v29, v29, s34
	s_wait_dscnt 0x5
	v_pk_add_f32 v[14:15], v[14:15], v[132:133]
	ds_bpermute_b32 v30, v122, v26
	ds_bpermute_b32 v31, v122, v27
	s_wait_dscnt 0x5
	v_pk_add_f32 v[16:17], v[16:17], v[130:131]
	ds_bpermute_b32 v32, v123, v28
	ds_bpermute_b32 v120, v122, v14
	ds_bpermute_b32 v121, v122, v15
	s_wait_dscnt 0x7
	ds_bpermute_b32 v128, v1, v18
	ds_bpermute_b32 v129, v1, v19
	;; [unrolled: 1-line block ×6, first 2 shown]
	v_dual_cndmask_b32 v28, -v28, v28, s34 :: v_dual_cndmask_b32 v27, -v27, v27, s33
	v_dual_cndmask_b32 v26, -v26, v26, s33 :: v_dual_cndmask_b32 v17, -v17, v17, s34
	;; [unrolled: 1-line block ×5, first 2 shown]
	s_wait_dscnt 0x9
	v_pk_add_f32 v[26:27], v[26:27], v[30:31]
	v_cndmask_b32_e64 v20, -v20, v20, s1
	v_pk_add_f32 v[4:5], v[134:135], v[142:143]
	s_wait_dscnt 0x6
	v_pk_add_f32 v[30:31], v[14:15], v[120:121]
	ds_bpermute_b32 v134, v1, v22
	ds_bpermute_b32 v120, v123, v26
	;; [unrolled: 1-line block ×3, first 2 shown]
	s_wait_dscnt 0x7
	v_pk_add_f32 v[18:19], v[18:19], v[128:129]
	s_wait_dscnt 0x5
	v_pk_add_f32 v[128:129], v[20:21], v[130:131]
	ds_bpermute_b32 v135, v1, v23
	ds_bpermute_b32 v136, v1, v24
	;; [unrolled: 1-line block ×3, first 2 shown]
	s_wait_dscnt 0x6
	v_pk_add_f32 v[16:17], v[16:17], v[118:119]
	ds_bpermute_b32 v118, v123, v30
	ds_bpermute_b32 v119, v123, v31
	;; [unrolled: 1-line block ×6, first 2 shown]
	v_dual_cndmask_b32 v21, -v27, v27, s34 :: v_dual_cndmask_b32 v20, -v26, v26, s34
	v_cndmask_b32_e64 v31, -v31, v31, s34
	v_pk_add_f32 v[14:15], v[28:29], v[32:33]
	ds_load_b128 v[26:29], v124 offset:16384
	v_dual_cndmask_b32 v23, -v23, v23, s1 :: v_dual_cndmask_b32 v22, -v22, v22, s1
	v_cndmask_b32_e64 v25, -v25, v25, s1
	s_wait_dscnt 0xa
	v_pk_add_f32 v[20:21], v[20:21], v[120:121]
	v_dual_cndmask_b32 v121, -v129, v129, s33 :: v_dual_cndmask_b32 v24, -v24, v24, s1
	v_cndmask_b32_e64 v32, -v18, v18, s33
	v_dual_cndmask_b32 v30, -v30, v30, s34 :: v_dual_cndmask_b32 v33, -v19, v19, s33
	v_cndmask_b32_e64 v120, -v128, v128, s33
	s_wait_dscnt 0x9
	v_pk_add_f32 v[22:23], v[22:23], v[134:135]
	s_wait_dscnt 0x7
	v_pk_add_f32 v[24:25], v[24:25], v[136:137]
	;; [unrolled: 2-line block ×3, first 2 shown]
	s_wait_kmcnt 0x0
	s_mov_b32 s41, s40
	s_wait_dscnt 0x2
	v_pk_add_f32 v[118:119], v[120:121], v[132:133]
	s_wait_dscnt 0x1
	v_pk_add_f32 v[120:121], v[32:33], v[130:131]
	ds_bpermute_b32 v128, v122, v22
	ds_bpermute_b32 v129, v122, v23
	;; [unrolled: 1-line block ×4, first 2 shown]
	ds_load_b128 v[30:33], v124 offset:20480
	s_wait_dscnt 0x5
	ds_bpermute_b32 v132, v1, v26
	ds_bpermute_b32 v133, v1, v27
	ds_bpermute_b32 v136, v1, v28
	ds_bpermute_b32 v137, v1, v29
	v_dual_cndmask_b32 v23, -v23, v23, s33 :: v_dual_cndmask_b32 v22, -v22, v22, s33
	v_dual_cndmask_b32 v25, -v25, v25, s33 :: v_dual_cndmask_b32 v24, -v24, v24, s33
	ds_bpermute_b32 v138, v123, v118
	ds_bpermute_b32 v139, v123, v119
	v_dual_cndmask_b32 v27, -v27, v27, s1 :: v_dual_cndmask_b32 v26, -v26, v26, s1
	v_dual_cndmask_b32 v29, -v29, v29, s1 :: v_dual_cndmask_b32 v28, -v28, v28, s1
	ds_bpermute_b32 v134, v123, v120
	ds_bpermute_b32 v135, v123, v121
	s_wait_dscnt 0xb
	v_pk_add_f32 v[22:23], v[22:23], v[128:129]
	v_dual_cndmask_b32 v119, -v119, v119, s34 :: v_dual_cndmask_b32 v118, -v118, v118, s34
	s_wait_dscnt 0x9
	v_pk_add_f32 v[128:129], v[24:25], v[130:131]
	v_cndmask_b32_e64 v121, -v121, v121, s34
	s_wait_dscnt 0x6
	v_pk_add_f32 v[26:27], v[26:27], v[132:133]
	ds_bpermute_b32 v130, v123, v22
	ds_bpermute_b32 v131, v123, v23
	s_wait_dscnt 0x6
	v_pk_add_f32 v[132:133], v[28:29], v[136:137]
	ds_bpermute_b32 v136, v123, v128
	ds_bpermute_b32 v137, v123, v129
	;; [unrolled: 1-line block ×4, first 2 shown]
	v_cndmask_b32_e64 v120, -v120, v120, s34
	s_wait_dscnt 0x8
	v_pk_add_f32 v[24:25], v[118:119], v[138:139]
	v_dual_cndmask_b32 v119, -v23, v23, s34 :: v_dual_cndmask_b32 v118, -v22, v22, s34
	v_dual_cndmask_b32 v129, -v129, v129, s34 :: v_dual_cndmask_b32 v128, -v128, v128, s34
	ds_bpermute_b32 v142, v122, v132
	ds_bpermute_b32 v143, v122, v133
	v_dual_cndmask_b32 v139, -v27, v27, s33 :: v_dual_cndmask_b32 v138, -v26, v26, s33
	ds_bpermute_b32 v144, v1, v30
	ds_bpermute_b32 v145, v1, v31
	ds_load_b128 v[26:29], v124 offset:24576
	v_cndmask_b32_e64 v133, -v133, v133, s33
	s_wait_dscnt 0xb
	v_pk_add_f32 v[22:23], v[120:121], v[134:135]
	s_wait_dscnt 0x9
	v_pk_add_f32 v[118:119], v[118:119], v[130:131]
	ds_bpermute_b32 v146, v1, v32
	s_wait_dscnt 0x8
	v_pk_add_f32 v[120:121], v[128:129], v[136:137]
	ds_load_b128 v[128:131], v124 offset:28672
	ds_bpermute_b32 v147, v1, v33
	v_dual_cndmask_b32 v132, -v132, v132, s33 :: v_dual_cndmask_b32 v31, -v31, v31, s1
	s_wait_dscnt 0x8
	v_pk_add_f32 v[134:135], v[138:139], v[140:141]
	v_dual_cndmask_b32 v30, -v30, v30, s1 :: v_dual_cndmask_b32 v33, -v33, v33, s1
	v_cndmask_b32_e64 v32, -v32, v32, s1
	s_wait_dscnt 0x0
	v_pk_add_f32 v[132:133], v[132:133], v[142:143]
	ds_bpermute_b32 v137, v123, v135
	v_cndmask_b32_e64 v135, -v135, v135, s34
	ds_bpermute_b32 v136, v123, v134
	v_pk_add_f32 v[30:31], v[30:31], v[144:145]
	ds_bpermute_b32 v140, v1, v26
	ds_bpermute_b32 v142, v1, v28
	;; [unrolled: 1-line block ×10, first 2 shown]
	v_pk_add_f32 v[32:33], v[32:33], v[146:147]
	v_dual_cndmask_b32 v27, -v27, v27, s1 :: v_dual_cndmask_b32 v29, -v29, v29, s1
	v_dual_cndmask_b32 v28, -v28, v28, s1 :: v_dual_cndmask_b32 v26, -v26, v26, s1
	ds_bpermute_b32 v146, v122, v32
	v_dual_cndmask_b32 v32, -v32, v32, s33 :: v_dual_cndmask_b32 v129, -v129, v129, s1
	v_dual_cndmask_b32 v128, -v128, v128, s1 :: v_dual_cndmask_b32 v131, -v131, v131, s1
	v_cndmask_b32_e64 v130, -v130, v130, s1
	ds_bpermute_b32 v139, v123, v133
	v_dual_cndmask_b32 v134, -v134, v134, s34 :: v_dual_cndmask_b32 v31, -v31, v31, s33
	ds_bpermute_b32 v147, v122, v33
	v_dual_cndmask_b32 v30, -v30, v30, s33 :: v_dual_cndmask_b32 v33, -v33, v33, s33
	s_wait_dscnt 0xa
	v_pk_add_f32 v[28:29], v[28:29], v[142:143]
	s_wait_dscnt 0x9
	v_pk_add_f32 v[26:27], v[26:27], v[140:141]
	;; [unrolled: 2-line block ×3, first 2 shown]
	v_cndmask_b32_e64 v133, -v133, v133, s34
	s_wait_dscnt 0x3
	v_pk_add_f32 v[130:131], v[130:131], v[150:151]
	v_pk_add_f32 v[30:31], v[30:31], v[144:145]
	ds_bpermute_b32 v140, v122, v26
	ds_bpermute_b32 v141, v122, v27
	;; [unrolled: 1-line block ×9, first 2 shown]
	v_dual_cndmask_b32 v132, -v132, v132, s34 :: v_dual_cndmask_b32 v27, -v27, v27, s33
	s_wait_dscnt 0x9
	v_pk_add_f32 v[32:33], v[32:33], v[146:147]
	v_dual_cndmask_b32 v26, -v26, v26, s33 :: v_dual_cndmask_b32 v29, -v29, v29, s33
	v_dual_cndmask_b32 v28, -v28, v28, s33 :: v_dual_cndmask_b32 v129, -v129, v129, s33
	;; [unrolled: 1-line block ×3, first 2 shown]
	v_cndmask_b32_e64 v130, -v130, v130, s33
	ds_bpermute_b32 v150, v123, v32
	ds_bpermute_b32 v151, v123, v33
	s_wait_dscnt 0x9
	v_pk_add_f32 v[26:27], v[26:27], v[140:141]
	v_cndmask_b32_e64 v33, -v33, v33, s34
	s_wait_dscnt 0x7
	v_pk_add_f32 v[28:29], v[28:29], v[142:143]
	ds_bpermute_b32 v146, v123, v30
	s_wait_dscnt 0x6
	v_pk_add_f32 v[142:143], v[128:129], v[144:145]
	ds_bpermute_b32 v147, v123, v31
	s_wait_dscnt 0x5
	v_pk_add_f32 v[144:145], v[130:131], v[148:149]
	ds_bpermute_b32 v140, v123, v26
	ds_bpermute_b32 v141, v123, v27
	ds_bpermute_b32 v148, v123, v28
	;; [unrolled: 1-line block ×7, first 2 shown]
	v_dual_cndmask_b32 v32, -v32, v32, s34 :: v_dual_cndmask_b32 v31, -v31, v31, s34
	v_pk_add_f32 v[128:129], v[134:135], v[136:137]
	v_dual_cndmask_b32 v30, -v30, v30, s34 :: v_dual_cndmask_b32 v27, -v27, v27, s34
	s_wait_dscnt 0xa
	s_delay_alu instid0(VALU_DEP_3)
	v_pk_add_f32 v[134:135], v[32:33], v[150:151]
	v_dual_cndmask_b32 v26, -v26, v26, s34 :: v_dual_cndmask_b32 v29, -v29, v29, s34
	v_dual_cndmask_b32 v28, -v28, v28, s34 :: v_dual_cndmask_b32 v33, -v143, v143, s34
	;; [unrolled: 1-line block ×3, first 2 shown]
	v_cndmask_b32_e64 v32, -v142, v142, s34
	v_pk_add_f32 v[130:131], v[132:133], v[138:139]
	s_wait_dscnt 0x8
	v_pk_add_f32 v[132:133], v[30:31], v[146:147]
	s_wait_dscnt 0x4
	v_pk_add_f32 v[138:139], v[28:29], v[148:149]
	v_pk_add_f32 v[136:137], v[26:27], v[140:141]
	s_barrier_signal -1
	s_wait_dscnt 0x1
	v_pk_add_f32 v[142:143], v[144:145], v[152:153]
	s_wait_dscnt 0x0
	v_pk_add_f32 v[140:141], v[32:33], v[122:123]
	s_barrier_wait -1
	ds_store_b128 v124, v[34:37]
	ds_store_b128 v124, v[46:49] offset:4096
	ds_store_b128 v124, v[62:65] offset:8192
	ds_store_b128 v124, v[58:61] offset:12288
	ds_store_b128 v124, v[78:81] offset:16384
	ds_store_b128 v124, v[86:89] offset:20480
	ds_store_b128 v124, v[102:105] offset:24576
	ds_store_b128 v124, v[110:113] offset:28672
	s_wait_dscnt 0x0
	s_barrier_signal -1
	s_barrier_wait -1
	ds_load_b128 v[26:29], v126
	ds_load_b128 v[30:33], v126 offset:4096
	ds_load_b128 v[34:37], v126 offset:8192
	ds_load_b128 v[46:49], v126 offset:12288
	ds_load_b128 v[58:61], v126 offset:16384
	ds_load_b128 v[62:65], v126 offset:20480
	ds_load_b128 v[78:81], v126 offset:24576
	ds_load_b128 v[86:89], v126 offset:28672
	s_wait_dscnt 0x0
	s_barrier_signal -1
	s_barrier_wait -1
	ds_store_b128 v124, v[42:45]
	ds_store_b128 v124, v[54:57] offset:4096
	ds_store_b128 v124, v[74:77] offset:8192
	ds_store_b128 v124, v[82:85] offset:12288
	ds_store_b128 v124, v[98:101] offset:16384
	ds_store_b128 v124, v[94:97] offset:20480
	ds_store_b128 v124, v[106:109] offset:24576
	ds_store_b128 v124, v[114:117] offset:28672
	s_wait_dscnt 0x0
	s_barrier_signal -1
	s_barrier_wait -1
	ds_load_b128 v[42:45], v126
	ds_load_b128 v[54:57], v126 offset:4096
	ds_load_b128 v[74:77], v126 offset:8192
	ds_load_b128 v[82:85], v126 offset:12288
	ds_load_b128 v[94:97], v126 offset:16384
	ds_load_b128 v[98:101], v126 offset:20480
	ds_load_b128 v[102:105], v126 offset:24576
	ds_load_b128 v[106:109], v126 offset:28672
	s_wait_dscnt 0x0
	s_barrier_signal -1
	;; [unrolled: 22-line block ×3, first 2 shown]
	s_barrier_wait -1
	ds_store_b128 v124, v[14:17]
	ds_store_b128 v124, v[18:21] offset:4096
	ds_store_b128 v124, v[22:25] offset:8192
	;; [unrolled: 1-line block ×7, first 2 shown]
	s_wait_dscnt 0x0
	s_barrier_signal -1
	s_barrier_wait -1
	ds_load_b128 v[14:17], v126
	ds_load_b128 v[18:21], v126 offset:4096
	ds_load_b128 v[22:25], v126 offset:8192
	;; [unrolled: 1-line block ×7, first 2 shown]
	v_pk_add_f32 v[186:187], v[26:27], v[30:31]
	v_pk_add_f32 v[188:189], v[34:35], v[46:47]
	;; [unrolled: 1-line block ×13, first 2 shown]
	s_wait_dscnt 0x6
	v_pk_add_f32 v[210:211], v[14:15], v[18:19]
	v_pk_add_f32 v[220:221], v[36:37], v[48:49]
	s_wait_dscnt 0x4
	v_pk_add_f32 v[212:213], v[22:23], v[110:111]
	v_pk_add_f32 v[222:223], v[60:61], v[64:65]
	s_wait_dscnt 0x2
	v_pk_add_f32 v[214:215], v[114:115], v[118:119]
	v_pk_add_f32 v[224:225], v[80:81], v[88:89]
	s_wait_dscnt 0x0
	v_pk_add_f32 v[216:217], v[122:123], v[126:127]
	v_pk_add_f32 v[226:227], v[44:45], v[56:57]
	v_pk_add_f32 v[228:229], v[76:77], v[84:85]
	v_pk_add_f32 v[230:231], v[96:97], v[100:101]
	v_pk_add_f32 v[232:233], v[104:105], v[108:109]
	v_pk_add_f32 v[234:235], v[4:5], v[8:9]
	v_pk_add_f32 v[236:237], v[12:13], v[40:41]
	v_pk_add_f32 v[238:239], v[52:53], v[68:69]
	v_pk_add_f32 v[240:241], v[72:73], v[92:93]
	v_pk_add_f32 v[242:243], v[16:17], v[20:21]
	v_pk_add_f32 v[244:245], v[24:25], v[112:113]
	v_pk_add_f32 v[246:247], v[116:117], v[120:121]
	v_pk_add_f32 v[248:249], v[124:125], v[128:129]
	v_pk_add_f32 v[154:155], v[186:187], v[188:189]
	v_pk_add_f32 v[156:157], v[190:191], v[192:193]
	v_pk_add_f32 v[158:159], v[194:195], v[196:197]
	v_pk_add_f32 v[160:161], v[198:199], v[200:201]
	v_pk_add_f32 v[162:163], v[202:203], v[204:205]
	v_pk_add_f32 v[164:165], v[206:207], v[208:209]
	v_pk_add_f32 v[166:167], v[210:211], v[212:213]
	v_pk_add_f32 v[168:169], v[214:215], v[216:217]
	v_pk_add_f32 v[170:171], v[218:219], v[220:221]
	v_pk_add_f32 v[172:173], v[222:223], v[224:225]
	v_pk_add_f32 v[174:175], v[226:227], v[228:229]
	v_pk_add_f32 v[176:177], v[230:231], v[232:233]
	v_pk_add_f32 v[178:179], v[234:235], v[236:237]
	v_pk_add_f32 v[180:181], v[238:239], v[240:241]
	v_pk_add_f32 v[182:183], v[242:243], v[244:245]
	v_pk_add_f32 v[184:185], v[246:247], v[248:249]
	v_pk_add_f32 v[138:139], v[154:155], v[156:157]
	v_pk_add_f32 v[140:141], v[158:159], v[160:161]
	v_pk_add_f32 v[142:143], v[162:163], v[164:165]
	v_pk_add_f32 v[144:145], v[166:167], v[168:169]
	v_pk_add_f32 v[146:147], v[170:171], v[172:173]
	v_pk_add_f32 v[148:149], v[174:175], v[176:177]
	v_pk_add_f32 v[150:151], v[178:179], v[180:181]
	v_pk_add_f32 v[152:153], v[182:183], v[184:185]
	s_mul_u64 s[34:35], s[42:43], s[44:45]
	v_pk_add_f32 v[132:133], v[138:139], v[140:141]
	v_pk_add_f32 v[136:137], v[142:143], v[144:145]
	;; [unrolled: 1-line block ×4, first 2 shown]
	s_lshl_b64 s[34:35], s[34:35], 2
	s_delay_alu instid0(SALU_CYCLE_1)
	s_add_nc_u64 s[34:35], s[38:39], s[34:35]
	s_and_saveexec_b32 s1, s20
	s_cbranch_execz .LBB12_66
; %bb.65:
	v_mov_b64_e32 v[252:253], s[40:41]
	v_pk_add_f32 v[250:251], v[132:133], v[136:137]
	v_pk_add_f32 v[254:255], v[130:131], v[134:135]
	s_delay_alu instid0(VALU_DEP_2) | instskip(NEXT) | instid1(VALU_DEP_2)
	v_pk_mul_f32 v[250:251], v[252:253], v[250:251]
	v_pk_mul_f32 v[252:253], v[252:253], v[254:255]
	global_store_b128 v0, v[250:253], s[34:35] scale_offset
.LBB12_66:
	s_wait_xcnt 0x0
	s_or_b32 exec_lo, exec_lo, s1
	v_pk_add_f32 v[26:27], v[26:27], v[30:31] neg_lo:[0,1] neg_hi:[0,1]
	v_pk_add_f32 v[30:31], v[34:35], v[46:47] neg_lo:[0,1] neg_hi:[0,1]
	;; [unrolled: 1-line block ×6, first 2 shown]
	s_set_vgpr_msb 64                       ;  msbs: dst=1 src0=0 src1=0 src2=0
	v_pk_add_f32 v[0:1] /*v[256:257]*/, v[60:61], v[64:65] neg_lo:[0,1] neg_hi:[0,1]
	v_pk_add_f32 v[2:3] /*v[258:259]*/, v[80:81], v[88:89] neg_lo:[0,1] neg_hi:[0,1]
	;; [unrolled: 1-line block ×6, first 2 shown]
	s_set_vgpr_msb 0                        ;  msbs: dst=0 src0=0 src1=0 src2=0
	v_pk_add_f32 v[98:99], v[94:95], v[98:99] neg_lo:[0,1] neg_hi:[0,1]
	v_pk_add_f32 v[96:97], v[96:97], v[100:101] neg_lo:[0,1] neg_hi:[0,1]
	;; [unrolled: 1-line block ×7, first 2 shown]
	s_set_vgpr_msb 64                       ;  msbs: dst=1 src0=0 src1=0 src2=0
	v_pk_add_f32 v[12:13] /*v[268:269]*/, v[12:13], v[40:41] neg_lo:[0,1] neg_hi:[0,1]
	v_pk_add_f32 v[14:15] /*v[270:271]*/, v[50:51], v[66:67] neg_lo:[0,1] neg_hi:[0,1]
	;; [unrolled: 1-line block ×5, first 2 shown]
	s_set_vgpr_msb 0                        ;  msbs: dst=0 src0=0 src1=0 src2=0
	v_pk_add_f32 v[18:19], v[14:15], v[18:19] neg_lo:[0,1] neg_hi:[0,1]
	v_pk_add_f32 v[16:17], v[16:17], v[20:21] neg_lo:[0,1] neg_hi:[0,1]
	;; [unrolled: 1-line block ×8, first 2 shown]
	v_pk_add_f32 v[32:33], v[26:27], v[30:31]
	v_pk_add_f32 v[34:35], v[250:251], v[252:253]
	s_set_vgpr_msb 5                        ;  msbs: dst=0 src0=1 src1=1 src2=0
	v_pk_add_f32 v[36:37], v[4:5] /*v[260:261]*/, v[8:9] /*v[264:265]*/
	s_set_vgpr_msb 0                        ;  msbs: dst=0 src0=0 src1=0 src2=0
	v_pk_add_f32 v[38:39], v[98:99], v[100:101]
	v_pk_add_f32 v[40:41], v[104:105], v[108:109]
	s_set_vgpr_msb 5                        ;  msbs: dst=0 src0=1 src1=1 src2=0
	v_pk_add_f32 v[42:43], v[14:15] /*v[270:271]*/, v[18:19] /*v[274:275]*/
	s_set_vgpr_msb 0                        ;  msbs: dst=0 src0=0 src1=0 src2=0
	v_pk_add_f32 v[44:45], v[18:19], v[20:21]
	v_pk_add_f32 v[46:47], v[24:25], v[112:113]
	;; [unrolled: 1-line block ×3, first 2 shown]
	s_set_vgpr_msb 5                        ;  msbs: dst=0 src0=1 src1=1 src2=0
	v_pk_add_f32 v[50:51], v[0:1] /*v[256:257]*/, v[2:3] /*v[258:259]*/
	v_pk_add_f32 v[52:53], v[6:7] /*v[262:263]*/, v[10:11] /*v[266:267]*/
	s_set_vgpr_msb 0                        ;  msbs: dst=0 src0=0 src1=0 src2=0
	v_pk_add_f32 v[54:55], v[96:97], v[102:103]
	s_set_vgpr_msb 4                        ;  msbs: dst=0 src0=0 src1=1 src2=0
	v_pk_add_f32 v[56:57], v[106:107], v[12:13] /*v[268:269]*/
	s_set_vgpr_msb 5                        ;  msbs: dst=0 src0=1 src1=1 src2=0
	v_pk_add_f32 v[58:59], v[16:17] /*v[272:273]*/, v[20:21] /*v[276:277]*/
	s_set_vgpr_msb 0                        ;  msbs: dst=0 src0=0 src1=0 src2=0
	v_pk_add_f32 v[60:61], v[16:17], v[22:23]
	v_pk_add_f32 v[62:63], v[110:111], v[114:115]
	;; [unrolled: 1-line block ×13, first 2 shown]
	s_delay_alu instid0(VALU_DEP_4)
	v_pk_add_f32 v[4:5], v[76:77], v[78:79]
	s_and_saveexec_b32 s1, s15
	s_cbranch_execz .LBB12_68
; %bb.67:
	v_mov_b64_e32 v[10:11], s[40:41]
	v_pk_add_f32 v[8:9], v[2:3], v[6:7]
	v_pk_add_f32 v[12:13], v[0:1], v[4:5]
	s_delay_alu instid0(VALU_DEP_2) | instskip(NEXT) | instid1(VALU_DEP_2)
	v_pk_mul_f32 v[8:9], v[10:11], v[8:9]
	v_pk_mul_f32 v[10:11], v[10:11], v[12:13]
	s_set_vgpr_msb 1                        ;  msbs: dst=0 src0=1 src1=0 src2=0
	global_store_b128 v36 /*v292*/, v[8:11], s[34:35] scale_offset
.LBB12_68:
	s_wait_xcnt 0x0
	s_or_b32 exec_lo, exec_lo, s1
	s_set_vgpr_msb 0                        ;  msbs: dst=0 src0=0 src1=0 src2=0
	v_pk_add_f32 v[186:187], v[186:187], v[188:189] neg_lo:[0,1] neg_hi:[0,1]
	v_pk_add_f32 v[188:189], v[190:191], v[192:193] neg_lo:[0,1] neg_hi:[0,1]
	;; [unrolled: 1-line block ×16, first 2 shown]
	v_pk_add_f32 v[80:81], v[186:187], v[188:189]
	v_pk_add_f32 v[82:83], v[190:191], v[192:193]
	;; [unrolled: 1-line block ×11, first 2 shown]
	s_delay_alu instid0(VALU_DEP_4)
	v_pk_add_f32 v[12:13], v[92:93], v[94:95]
	s_and_saveexec_b32 s1, s10
	s_cbranch_execz .LBB12_70
; %bb.69:
	v_mov_b64_e32 v[118:119], s[40:41]
	v_pk_add_f32 v[116:117], v[10:11], v[14:15]
	v_pk_add_f32 v[120:121], v[8:9], v[12:13]
	s_delay_alu instid0(VALU_DEP_2) | instskip(NEXT) | instid1(VALU_DEP_2)
	v_pk_mul_f32 v[116:117], v[118:119], v[116:117]
	v_pk_mul_f32 v[118:119], v[118:119], v[120:121]
	s_set_vgpr_msb 1                        ;  msbs: dst=0 src0=1 src1=0 src2=0
	global_store_b128 v31 /*v287*/, v[116:119], s[34:35] scale_offset
.LBB12_70:
	s_wait_xcnt 0x0
	s_or_b32 exec_lo, exec_lo, s1
	s_set_vgpr_msb 0                        ;  msbs: dst=0 src0=0 src1=0 src2=0
	v_pk_add_f32 v[218:219], v[26:27], v[30:31] neg_lo:[0,1] neg_hi:[0,1]
	v_pk_add_f32 v[220:221], v[250:251], v[252:253] neg_lo:[0,1] neg_hi:[0,1]
	;; [unrolled: 1-line block ×3, first 2 shown]
	s_set_vgpr_msb 5                        ;  msbs: dst=0 src0=1 src1=1 src2=0
	v_pk_add_f32 v[224:225], v[0:1] /*v[256:257]*/, v[2:3] /*v[258:259]*/ neg_lo:[0,1] neg_hi:[0,1]
	v_pk_add_f32 v[226:227], v[4:5] /*v[260:261]*/, v[8:9] /*v[264:265]*/ neg_lo:[0,1] neg_hi:[0,1]
	;; [unrolled: 1-line block ×3, first 2 shown]
	s_set_vgpr_msb 0                        ;  msbs: dst=0 src0=0 src1=0 src2=0
	v_pk_add_f32 v[232:233], v[98:99], v[100:101] neg_lo:[0,1] neg_hi:[0,1]
	v_pk_add_f32 v[234:235], v[96:97], v[102:103] neg_lo:[0,1] neg_hi:[0,1]
	v_pk_add_f32 v[236:237], v[104:105], v[108:109] neg_lo:[0,1] neg_hi:[0,1]
	s_set_vgpr_msb 4                        ;  msbs: dst=0 src0=0 src1=1 src2=0
	v_pk_add_f32 v[230:231], v[106:107], v[12:13] /*v[268:269]*/ neg_lo:[0,1] neg_hi:[0,1]
	s_set_vgpr_msb 5                        ;  msbs: dst=0 src0=1 src1=1 src2=0
	v_pk_add_f32 v[242:243], v[14:15] /*v[270:271]*/, v[18:19] /*v[274:275]*/ neg_lo:[0,1] neg_hi:[0,1]
	v_pk_add_f32 v[238:239], v[16:17] /*v[272:273]*/, v[20:21] /*v[276:277]*/ neg_lo:[0,1] neg_hi:[0,1]
	s_set_vgpr_msb 0                        ;  msbs: dst=0 src0=0 src1=0 src2=0
	v_pk_add_f32 v[244:245], v[18:19], v[20:21] neg_lo:[0,1] neg_hi:[0,1]
	v_pk_add_f32 v[240:241], v[16:17], v[22:23] neg_lo:[0,1] neg_hi:[0,1]
	;; [unrolled: 1-line block ×4, first 2 shown]
	v_pk_add_f32 v[96:97], v[218:219], v[220:221]
	v_pk_add_f32 v[98:99], v[226:227], v[232:233]
	;; [unrolled: 1-line block ×11, first 2 shown]
	s_delay_alu instid0(VALU_DEP_4)
	v_pk_add_f32 v[20:21], v[108:109], v[110:111]
	s_and_saveexec_b32 s1, s6
	s_cbranch_execz .LBB12_72
; %bb.71:
	v_mov_b64_e32 v[26:27], s[40:41]
	v_pk_add_f32 v[24:25], v[18:19], v[22:23]
	v_pk_add_f32 v[28:29], v[16:17], v[20:21]
	s_delay_alu instid0(VALU_DEP_2) | instskip(NEXT) | instid1(VALU_DEP_2)
	v_pk_mul_f32 v[24:25], v[26:27], v[24:25]
	v_pk_mul_f32 v[26:27], v[26:27], v[28:29]
	s_set_vgpr_msb 1                        ;  msbs: dst=0 src0=1 src1=0 src2=0
	global_store_b128 v27 /*v283*/, v[24:27], s[34:35] scale_offset
.LBB12_72:
	s_wait_xcnt 0x0
	s_or_b32 exec_lo, exec_lo, s1
	s_set_vgpr_msb 0                        ;  msbs: dst=0 src0=0 src1=0 src2=0
	v_pk_add_f32 v[112:113], v[154:155], v[156:157] neg_lo:[0,1] neg_hi:[0,1]
	v_pk_add_f32 v[114:115], v[158:159], v[160:161] neg_lo:[0,1] neg_hi:[0,1]
	v_pk_add_f32 v[116:117], v[162:163], v[164:165] neg_lo:[0,1] neg_hi:[0,1]
	v_pk_add_f32 v[118:119], v[166:167], v[168:169] neg_lo:[0,1] neg_hi:[0,1]
	v_pk_add_f32 v[120:121], v[170:171], v[172:173] neg_lo:[0,1] neg_hi:[0,1]
	v_pk_add_f32 v[122:123], v[174:175], v[176:177] neg_lo:[0,1] neg_hi:[0,1]
	v_pk_add_f32 v[124:125], v[178:179], v[180:181] neg_lo:[0,1] neg_hi:[0,1]
	v_pk_add_f32 v[126:127], v[182:183], v[184:185] neg_lo:[0,1] neg_hi:[0,1]
	v_pk_add_f32 v[26:27], v[112:113], v[114:115]
	v_pk_add_f32 v[30:31], v[116:117], v[118:119]
	v_pk_add_f32 v[24:25], v[120:121], v[122:123]
	s_delay_alu instid0(VALU_DEP_4)
	v_pk_add_f32 v[28:29], v[124:125], v[126:127]
	s_and_saveexec_b32 s1, s5
	s_cbranch_execz .LBB12_74
; %bb.73:
	v_mov_b64_e32 v[156:157], s[40:41]
	v_pk_add_f32 v[128:129], v[26:27], v[30:31]
	v_pk_add_f32 v[158:159], v[24:25], v[28:29]
	s_delay_alu instid0(VALU_DEP_2) | instskip(NEXT) | instid1(VALU_DEP_2)
	v_pk_mul_f32 v[154:155], v[156:157], v[128:129]
	v_pk_mul_f32 v[156:157], v[156:157], v[158:159]
	s_set_vgpr_msb 1                        ;  msbs: dst=0 src0=1 src1=0 src2=0
	global_store_b128 v26 /*v282*/, v[154:157], s[34:35] scale_offset
.LBB12_74:
	s_wait_xcnt 0x0
	s_or_b32 exec_lo, exec_lo, s1
	s_set_vgpr_msb 0                        ;  msbs: dst=0 src0=0 src1=0 src2=0
	v_pk_add_f32 v[128:129], v[32:33], v[34:35] neg_lo:[0,1] neg_hi:[0,1]
	v_pk_add_f32 v[154:155], v[36:37], v[38:39] neg_lo:[0,1] neg_hi:[0,1]
	v_pk_add_f32 v[156:157], v[40:41], v[42:43] neg_lo:[0,1] neg_hi:[0,1]
	v_pk_add_f32 v[158:159], v[44:45], v[46:47] neg_lo:[0,1] neg_hi:[0,1]
	v_pk_add_f32 v[160:161], v[48:49], v[50:51] neg_lo:[0,1] neg_hi:[0,1]
	v_pk_add_f32 v[162:163], v[52:53], v[54:55] neg_lo:[0,1] neg_hi:[0,1]
	v_pk_add_f32 v[164:165], v[56:57], v[58:59] neg_lo:[0,1] neg_hi:[0,1]
	v_pk_add_f32 v[166:167], v[60:61], v[62:63] neg_lo:[0,1] neg_hi:[0,1]
	v_pk_add_f32 v[34:35], v[128:129], v[154:155]
	v_pk_add_f32 v[38:39], v[156:157], v[158:159]
	v_pk_add_f32 v[32:33], v[160:161], v[162:163]
	;; [unrolled: 28-line block ×4, first 2 shown]
	s_delay_alu instid0(VALU_DEP_4)
	v_pk_add_f32 v[52:53], v[194:195], v[198:199]
	s_and_saveexec_b32 s1, vcc_lo
	s_cbranch_execz .LBB12_80
; %bb.79:
	v_mov_b64_e32 v[58:59], s[40:41]
	v_pk_add_f32 v[56:57], v[50:51], v[54:55]
	v_pk_add_f32 v[60:61], v[48:49], v[52:53]
	s_delay_alu instid0(VALU_DEP_2) | instskip(NEXT) | instid1(VALU_DEP_2)
	v_pk_mul_f32 v[56:57], v[58:59], v[56:57]
	v_pk_mul_f32 v[58:59], v[58:59], v[60:61]
	s_set_vgpr_msb 1                        ;  msbs: dst=0 src0=1 src1=0 src2=0
	global_store_b128 v22 /*v278*/, v[56:59], s[34:35] scale_offset
.LBB12_80:
	s_wait_xcnt 0x0
	s_or_b32 exec_lo, exec_lo, s1
	s_set_vgpr_msb 0                        ;  msbs: dst=0 src0=0 src1=0 src2=0
	v_pk_add_f32 v[58:59], v[138:139], v[140:141] neg_lo:[0,1] neg_hi:[0,1]
	v_pk_add_f32 v[62:63], v[142:143], v[144:145] neg_lo:[0,1] neg_hi:[0,1]
	v_pk_add_f32 v[56:57], v[146:147], v[148:149] neg_lo:[0,1] neg_hi:[0,1]
	v_pk_add_f32 v[60:61], v[150:151], v[152:153] neg_lo:[0,1] neg_hi:[0,1]
	s_and_saveexec_b32 s1, s4
	s_cbranch_execz .LBB12_82
; %bb.81:
	v_mov_b64_e32 v[140:141], s[40:41]
	v_pk_add_f32 v[138:139], v[58:59], v[62:63]
	v_pk_add_f32 v[142:143], v[56:57], v[60:61]
	s_delay_alu instid0(VALU_DEP_2) | instskip(NEXT) | instid1(VALU_DEP_2)
	v_pk_mul_f32 v[138:139], v[140:141], v[138:139]
	v_pk_mul_f32 v[140:141], v[140:141], v[142:143]
	s_set_vgpr_msb 1                        ;  msbs: dst=0 src0=1 src1=0 src2=0
	global_store_b128 v25 /*v281*/, v[138:141], s[34:35] scale_offset
.LBB12_82:
	s_wait_xcnt 0x0
	s_or_b32 exec_lo, exec_lo, s1
	s_set_vgpr_msb 0                        ;  msbs: dst=0 src0=0 src1=0 src2=0
	v_pk_add_f32 v[66:67], v[64:65], v[66:67] neg_lo:[0,1] neg_hi:[0,1]
	v_pk_add_f32 v[70:71], v[68:69], v[70:71] neg_lo:[0,1] neg_hi:[0,1]
	v_pk_add_f32 v[64:65], v[72:73], v[74:75] neg_lo:[0,1] neg_hi:[0,1]
	v_pk_add_f32 v[68:69], v[76:77], v[78:79] neg_lo:[0,1] neg_hi:[0,1]
	s_and_saveexec_b32 s1, s7
	s_cbranch_execz .LBB12_84
; %bb.83:
	v_mov_b64_e32 v[74:75], s[40:41]
	v_pk_add_f32 v[72:73], v[66:67], v[70:71]
	v_pk_add_f32 v[76:77], v[64:65], v[68:69]
	s_delay_alu instid0(VALU_DEP_2) | instskip(NEXT) | instid1(VALU_DEP_2)
	v_pk_mul_f32 v[72:73], v[74:75], v[72:73]
	v_pk_mul_f32 v[74:75], v[74:75], v[76:77]
	s_set_vgpr_msb 1                        ;  msbs: dst=0 src0=1 src1=0 src2=0
	global_store_b128 v28 /*v284*/, v[72:75], s[34:35] scale_offset
.LBB12_84:
	s_wait_xcnt 0x0
	s_or_b32 exec_lo, exec_lo, s1
	s_set_vgpr_msb 0                        ;  msbs: dst=0 src0=0 src1=0 src2=0
	v_pk_add_f32 v[74:75], v[80:81], v[82:83] neg_lo:[0,1] neg_hi:[0,1]
	v_pk_add_f32 v[78:79], v[84:85], v[86:87] neg_lo:[0,1] neg_hi:[0,1]
	v_pk_add_f32 v[72:73], v[88:89], v[90:91] neg_lo:[0,1] neg_hi:[0,1]
	v_pk_add_f32 v[76:77], v[92:93], v[94:95] neg_lo:[0,1] neg_hi:[0,1]
	s_and_saveexec_b32 s1, s8
	s_cbranch_execz .LBB12_86
; %bb.85:
	v_mov_b64_e32 v[82:83], s[40:41]
	v_pk_add_f32 v[80:81], v[74:75], v[78:79]
	v_pk_add_f32 v[84:85], v[72:73], v[76:77]
	s_delay_alu instid0(VALU_DEP_2) | instskip(NEXT) | instid1(VALU_DEP_2)
	v_pk_mul_f32 v[80:81], v[82:83], v[80:81]
	v_pk_mul_f32 v[82:83], v[82:83], v[84:85]
	s_set_vgpr_msb 1                        ;  msbs: dst=0 src0=1 src1=0 src2=0
	global_store_b128 v29 /*v285*/, v[80:83], s[34:35] scale_offset
.LBB12_86:
	s_wait_xcnt 0x0
	s_or_b32 exec_lo, exec_lo, s1
	s_set_vgpr_msb 0                        ;  msbs: dst=0 src0=0 src1=0 src2=0
	v_pk_add_f32 v[82:83], v[96:97], v[98:99] neg_lo:[0,1] neg_hi:[0,1]
	v_pk_add_f32 v[86:87], v[100:101], v[102:103] neg_lo:[0,1] neg_hi:[0,1]
	v_pk_add_f32 v[80:81], v[104:105], v[106:107] neg_lo:[0,1] neg_hi:[0,1]
	v_pk_add_f32 v[84:85], v[108:109], v[110:111] neg_lo:[0,1] neg_hi:[0,1]
	s_and_saveexec_b32 s1, s9
	s_cbranch_execz .LBB12_88
; %bb.87:
	v_mov_b64_e32 v[90:91], s[40:41]
	v_pk_add_f32 v[88:89], v[82:83], v[86:87]
	v_pk_add_f32 v[92:93], v[80:81], v[84:85]
	s_delay_alu instid0(VALU_DEP_2) | instskip(NEXT) | instid1(VALU_DEP_2)
	v_pk_mul_f32 v[88:89], v[90:91], v[88:89]
	v_pk_mul_f32 v[90:91], v[90:91], v[92:93]
	s_set_vgpr_msb 1                        ;  msbs: dst=0 src0=1 src1=0 src2=0
	global_store_b128 v30 /*v286*/, v[88:91], s[34:35] scale_offset
.LBB12_88:
	s_wait_xcnt 0x0
	s_or_b32 exec_lo, exec_lo, s1
	s_set_vgpr_msb 0                        ;  msbs: dst=0 src0=0 src1=0 src2=0
	v_pk_add_f32 v[90:91], v[112:113], v[114:115] neg_lo:[0,1] neg_hi:[0,1]
	v_pk_add_f32 v[94:95], v[116:117], v[118:119] neg_lo:[0,1] neg_hi:[0,1]
	v_pk_add_f32 v[88:89], v[120:121], v[122:123] neg_lo:[0,1] neg_hi:[0,1]
	v_pk_add_f32 v[92:93], v[124:125], v[126:127] neg_lo:[0,1] neg_hi:[0,1]
	s_and_saveexec_b32 s1, s11
	s_cbranch_execz .LBB12_90
; %bb.89:
	v_mov_b64_e32 v[98:99], s[40:41]
	v_pk_add_f32 v[96:97], v[90:91], v[94:95]
	v_pk_add_f32 v[100:101], v[88:89], v[92:93]
	s_delay_alu instid0(VALU_DEP_2) | instskip(NEXT) | instid1(VALU_DEP_2)
	v_pk_mul_f32 v[96:97], v[98:99], v[96:97]
	v_pk_mul_f32 v[98:99], v[98:99], v[100:101]
	s_set_vgpr_msb 1                        ;  msbs: dst=0 src0=1 src1=0 src2=0
	global_store_b128 v32 /*v288*/, v[96:99], s[34:35] scale_offset
.LBB12_90:
	s_wait_xcnt 0x0
	s_or_b32 exec_lo, exec_lo, s1
	s_set_vgpr_msb 0                        ;  msbs: dst=0 src0=0 src1=0 src2=0
	v_pk_add_f32 v[98:99], v[128:129], v[154:155] neg_lo:[0,1] neg_hi:[0,1]
	v_pk_add_f32 v[102:103], v[156:157], v[158:159] neg_lo:[0,1] neg_hi:[0,1]
	v_pk_add_f32 v[96:97], v[160:161], v[162:163] neg_lo:[0,1] neg_hi:[0,1]
	v_pk_add_f32 v[100:101], v[164:165], v[166:167] neg_lo:[0,1] neg_hi:[0,1]
	s_and_saveexec_b32 s1, s12
	s_cbranch_execz .LBB12_92
; %bb.91:
	v_mov_b64_e32 v[106:107], s[40:41]
	v_pk_add_f32 v[104:105], v[98:99], v[102:103]
	v_pk_add_f32 v[108:109], v[96:97], v[100:101]
	s_delay_alu instid0(VALU_DEP_2) | instskip(NEXT) | instid1(VALU_DEP_2)
	v_pk_mul_f32 v[104:105], v[106:107], v[104:105]
	v_pk_mul_f32 v[106:107], v[106:107], v[108:109]
	s_set_vgpr_msb 1                        ;  msbs: dst=0 src0=1 src1=0 src2=0
	global_store_b128 v33 /*v289*/, v[104:107], s[34:35] scale_offset
.LBB12_92:
	s_wait_xcnt 0x0
	s_or_b32 exec_lo, exec_lo, s1
	s_set_vgpr_msb 0                        ;  msbs: dst=0 src0=0 src1=0 src2=0
	v_pk_add_f32 v[106:107], v[168:169], v[170:171] neg_lo:[0,1] neg_hi:[0,1]
	v_pk_add_f32 v[110:111], v[172:173], v[174:175] neg_lo:[0,1] neg_hi:[0,1]
	v_pk_add_f32 v[104:105], v[176:177], v[178:179] neg_lo:[0,1] neg_hi:[0,1]
	v_pk_add_f32 v[108:109], v[180:181], v[182:183] neg_lo:[0,1] neg_hi:[0,1]
	s_and_saveexec_b32 s1, s13
	s_cbranch_execz .LBB12_94
; %bb.93:
	v_mov_b64_e32 v[114:115], s[40:41]
	v_pk_add_f32 v[112:113], v[106:107], v[110:111]
	v_pk_add_f32 v[116:117], v[104:105], v[108:109]
	s_delay_alu instid0(VALU_DEP_2) | instskip(NEXT) | instid1(VALU_DEP_2)
	v_pk_mul_f32 v[112:113], v[114:115], v[112:113]
	v_pk_mul_f32 v[114:115], v[114:115], v[116:117]
	s_set_vgpr_msb 1                        ;  msbs: dst=0 src0=1 src1=0 src2=0
	global_store_b128 v34 /*v290*/, v[112:115], s[34:35] scale_offset
.LBB12_94:
	s_wait_xcnt 0x0
	s_or_b32 exec_lo, exec_lo, s1
	s_set_vgpr_msb 0                        ;  msbs: dst=0 src0=0 src1=0 src2=0
	v_pk_add_f32 v[114:115], v[184:185], v[188:189] neg_lo:[0,1] neg_hi:[0,1]
	v_pk_add_f32 v[112:113], v[186:187], v[190:191] neg_lo:[0,1] neg_hi:[0,1]
	v_pk_add_f32 v[118:119], v[192:193], v[196:197] neg_lo:[0,1] neg_hi:[0,1]
	v_pk_add_f32 v[116:117], v[194:195], v[198:199] neg_lo:[0,1] neg_hi:[0,1]
	s_and_saveexec_b32 s1, s14
	s_cbranch_execnz .LBB12_112
; %bb.95:
	s_or_b32 exec_lo, exec_lo, s1
	s_and_saveexec_b32 s1, s16
	s_cbranch_execnz .LBB12_113
.LBB12_96:
	s_or_b32 exec_lo, exec_lo, s1
	s_and_saveexec_b32 s1, s17
	s_cbranch_execnz .LBB12_114
.LBB12_97:
	s_or_b32 exec_lo, exec_lo, s1
	s_and_saveexec_b32 s1, s18
	s_cbranch_execnz .LBB12_115
.LBB12_98:
	s_or_b32 exec_lo, exec_lo, s1
	s_and_saveexec_b32 s1, s19
	s_cbranch_execnz .LBB12_116
.LBB12_99:
	s_or_b32 exec_lo, exec_lo, s1
	s_and_saveexec_b32 s1, s21
	s_cbranch_execnz .LBB12_117
.LBB12_100:
	s_or_b32 exec_lo, exec_lo, s1
	s_and_saveexec_b32 s1, s22
	s_cbranch_execnz .LBB12_118
.LBB12_101:
	s_or_b32 exec_lo, exec_lo, s1
	s_and_saveexec_b32 s1, s23
	s_cbranch_execnz .LBB12_119
.LBB12_102:
	s_or_b32 exec_lo, exec_lo, s1
	s_and_saveexec_b32 s1, s24
	s_cbranch_execnz .LBB12_120
.LBB12_103:
	s_or_b32 exec_lo, exec_lo, s1
	s_and_saveexec_b32 s1, s25
	s_cbranch_execnz .LBB12_121
.LBB12_104:
	s_or_b32 exec_lo, exec_lo, s1
	s_and_saveexec_b32 s1, s26
	s_cbranch_execnz .LBB12_122
.LBB12_105:
	s_or_b32 exec_lo, exec_lo, s1
	s_and_saveexec_b32 s1, s27
	s_cbranch_execnz .LBB12_123
.LBB12_106:
	s_or_b32 exec_lo, exec_lo, s1
	s_and_saveexec_b32 s1, s28
	s_cbranch_execnz .LBB12_124
.LBB12_107:
	s_or_b32 exec_lo, exec_lo, s1
	s_and_saveexec_b32 s1, s29
	s_cbranch_execnz .LBB12_125
.LBB12_108:
	s_or_b32 exec_lo, exec_lo, s1
	s_and_saveexec_b32 s1, s30
	s_cbranch_execnz .LBB12_126
.LBB12_109:
	s_or_b32 exec_lo, exec_lo, s1
	s_and_saveexec_b32 s1, s31
	s_cbranch_execnz .LBB12_127
.LBB12_110:
	s_or_b32 exec_lo, exec_lo, s1
	s_and_saveexec_b32 s1, s0
	s_cbranch_execnz .LBB12_128
.LBB12_111:
	s_sendmsg sendmsg(MSG_DEALLOC_VGPRS)
	s_endpgm
.LBB12_112:
	v_mov_b64_e32 v[122:123], s[40:41]
	v_pk_add_f32 v[120:121], v[114:115], v[118:119]
	v_pk_add_f32 v[124:125], v[112:113], v[116:117]
	s_delay_alu instid0(VALU_DEP_2) | instskip(NEXT) | instid1(VALU_DEP_2)
	v_pk_mul_f32 v[120:121], v[122:123], v[120:121]
	v_pk_mul_f32 v[122:123], v[122:123], v[124:125]
	s_set_vgpr_msb 1                        ;  msbs: dst=0 src0=1 src1=0 src2=0
	global_store_b128 v35 /*v291*/, v[120:123], s[34:35] scale_offset
	s_wait_xcnt 0x0
	s_or_b32 exec_lo, exec_lo, s1
	s_and_saveexec_b32 s1, s16
	s_set_vgpr_msb 0                        ;  msbs: dst=0 src0=0 src1=0 src2=0
	s_cbranch_execz .LBB12_96
.LBB12_113:
	v_mov_b64_e32 v[122:123], s[40:41]
	v_pk_add_f32 v[120:121], v[132:133], v[136:137] neg_lo:[0,1] neg_hi:[0,1]
	v_pk_add_f32 v[124:125], v[130:131], v[134:135] neg_lo:[0,1] neg_hi:[0,1]
	s_delay_alu instid0(VALU_DEP_2) | instskip(NEXT) | instid1(VALU_DEP_2)
	v_pk_mul_f32 v[120:121], v[122:123], v[120:121]
	v_pk_mul_f32 v[122:123], v[122:123], v[124:125]
	s_set_vgpr_msb 1                        ;  msbs: dst=0 src0=1 src1=0 src2=0
	global_store_b128 v37 /*v293*/, v[120:123], s[34:35] scale_offset
	s_wait_xcnt 0x0
	s_or_b32 exec_lo, exec_lo, s1
	s_and_saveexec_b32 s1, s17
	s_set_vgpr_msb 0                        ;  msbs: dst=0 src0=0 src1=0 src2=0
	s_cbranch_execz .LBB12_97
.LBB12_114:
	v_pk_add_f32 v[2:3], v[2:3], v[6:7] neg_lo:[0,1] neg_hi:[0,1]
	v_mov_b64_e32 v[6:7], s[40:41]
	v_pk_add_f32 v[4:5], v[0:1], v[4:5] neg_lo:[0,1] neg_hi:[0,1]
	s_delay_alu instid0(VALU_DEP_2) | instskip(NEXT) | instid1(VALU_DEP_2)
	v_pk_mul_f32 v[0:1], v[6:7], v[2:3]
	v_pk_mul_f32 v[2:3], v[6:7], v[4:5]
	s_set_vgpr_msb 1                        ;  msbs: dst=0 src0=1 src1=0 src2=0
	global_store_b128 v38 /*v294*/, v[0:3], s[34:35] scale_offset
	s_wait_xcnt 0x0
	s_or_b32 exec_lo, exec_lo, s1
	s_and_saveexec_b32 s1, s18
	s_set_vgpr_msb 0                        ;  msbs: dst=0 src0=0 src1=0 src2=0
	s_cbranch_execz .LBB12_98
.LBB12_115:
	v_mov_b64_e32 v[2:3], s[40:41]
	v_pk_add_f32 v[0:1], v[10:11], v[14:15] neg_lo:[0,1] neg_hi:[0,1]
	v_pk_add_f32 v[4:5], v[8:9], v[12:13] neg_lo:[0,1] neg_hi:[0,1]
	s_delay_alu instid0(VALU_DEP_2) | instskip(NEXT) | instid1(VALU_DEP_2)
	v_pk_mul_f32 v[0:1], v[2:3], v[0:1]
	v_pk_mul_f32 v[2:3], v[2:3], v[4:5]
	s_set_vgpr_msb 1                        ;  msbs: dst=0 src0=1 src1=0 src2=0
	global_store_b128 v39 /*v295*/, v[0:3], s[34:35] scale_offset
	s_wait_xcnt 0x0
	s_or_b32 exec_lo, exec_lo, s1
	s_and_saveexec_b32 s1, s19
	s_set_vgpr_msb 0                        ;  msbs: dst=0 src0=0 src1=0 src2=0
	s_cbranch_execz .LBB12_99
.LBB12_116:
	v_mov_b64_e32 v[2:3], s[40:41]
	v_pk_add_f32 v[0:1], v[18:19], v[22:23] neg_lo:[0,1] neg_hi:[0,1]
	v_pk_add_f32 v[4:5], v[16:17], v[20:21] neg_lo:[0,1] neg_hi:[0,1]
	s_delay_alu instid0(VALU_DEP_2) | instskip(NEXT) | instid1(VALU_DEP_2)
	v_pk_mul_f32 v[0:1], v[2:3], v[0:1]
	v_pk_mul_f32 v[2:3], v[2:3], v[4:5]
	s_set_vgpr_msb 1                        ;  msbs: dst=0 src0=1 src1=0 src2=0
	global_store_b128 v40 /*v296*/, v[0:3], s[34:35] scale_offset
	s_wait_xcnt 0x0
	s_or_b32 exec_lo, exec_lo, s1
	s_and_saveexec_b32 s1, s21
	s_set_vgpr_msb 0                        ;  msbs: dst=0 src0=0 src1=0 src2=0
	s_cbranch_execz .LBB12_100
.LBB12_117:
	v_mov_b64_e32 v[2:3], s[40:41]
	v_pk_add_f32 v[0:1], v[26:27], v[30:31] neg_lo:[0,1] neg_hi:[0,1]
	v_pk_add_f32 v[4:5], v[24:25], v[28:29] neg_lo:[0,1] neg_hi:[0,1]
	s_delay_alu instid0(VALU_DEP_2) | instskip(NEXT) | instid1(VALU_DEP_2)
	v_pk_mul_f32 v[0:1], v[2:3], v[0:1]
	v_pk_mul_f32 v[2:3], v[2:3], v[4:5]
	s_set_vgpr_msb 1                        ;  msbs: dst=0 src0=1 src1=0 src2=0
	global_store_b128 v41 /*v297*/, v[0:3], s[34:35] scale_offset
	s_wait_xcnt 0x0
	s_or_b32 exec_lo, exec_lo, s1
	s_and_saveexec_b32 s1, s22
	s_set_vgpr_msb 0                        ;  msbs: dst=0 src0=0 src1=0 src2=0
	s_cbranch_execz .LBB12_101
.LBB12_118:
	v_mov_b64_e32 v[2:3], s[40:41]
	v_pk_add_f32 v[0:1], v[34:35], v[38:39] neg_lo:[0,1] neg_hi:[0,1]
	v_pk_add_f32 v[4:5], v[32:33], v[36:37] neg_lo:[0,1] neg_hi:[0,1]
	s_delay_alu instid0(VALU_DEP_2) | instskip(NEXT) | instid1(VALU_DEP_2)
	v_pk_mul_f32 v[0:1], v[2:3], v[0:1]
	v_pk_mul_f32 v[2:3], v[2:3], v[4:5]
	s_set_vgpr_msb 1                        ;  msbs: dst=0 src0=1 src1=0 src2=0
	global_store_b128 v42 /*v298*/, v[0:3], s[34:35] scale_offset
	s_wait_xcnt 0x0
	s_or_b32 exec_lo, exec_lo, s1
	s_and_saveexec_b32 s1, s23
	s_set_vgpr_msb 0                        ;  msbs: dst=0 src0=0 src1=0 src2=0
	s_cbranch_execz .LBB12_102
.LBB12_119:
	v_mov_b64_e32 v[2:3], s[40:41]
	v_pk_add_f32 v[0:1], v[42:43], v[46:47] neg_lo:[0,1] neg_hi:[0,1]
	v_pk_add_f32 v[4:5], v[40:41], v[44:45] neg_lo:[0,1] neg_hi:[0,1]
	s_delay_alu instid0(VALU_DEP_2) | instskip(NEXT) | instid1(VALU_DEP_2)
	v_pk_mul_f32 v[0:1], v[2:3], v[0:1]
	v_pk_mul_f32 v[2:3], v[2:3], v[4:5]
	s_set_vgpr_msb 1                        ;  msbs: dst=0 src0=1 src1=0 src2=0
	global_store_b128 v43 /*v299*/, v[0:3], s[34:35] scale_offset
	s_wait_xcnt 0x0
	s_or_b32 exec_lo, exec_lo, s1
	s_and_saveexec_b32 s1, s24
	s_set_vgpr_msb 0                        ;  msbs: dst=0 src0=0 src1=0 src2=0
	s_cbranch_execz .LBB12_103
.LBB12_120:
	v_mov_b64_e32 v[2:3], s[40:41]
	v_pk_add_f32 v[0:1], v[50:51], v[54:55] neg_lo:[0,1] neg_hi:[0,1]
	v_pk_add_f32 v[4:5], v[48:49], v[52:53] neg_lo:[0,1] neg_hi:[0,1]
	s_delay_alu instid0(VALU_DEP_2) | instskip(NEXT) | instid1(VALU_DEP_2)
	v_pk_mul_f32 v[0:1], v[2:3], v[0:1]
	v_pk_mul_f32 v[2:3], v[2:3], v[4:5]
	s_set_vgpr_msb 1                        ;  msbs: dst=0 src0=1 src1=0 src2=0
	global_store_b128 v44 /*v300*/, v[0:3], s[34:35] scale_offset
	s_wait_xcnt 0x0
	s_or_b32 exec_lo, exec_lo, s1
	s_and_saveexec_b32 s1, s25
	s_set_vgpr_msb 0                        ;  msbs: dst=0 src0=0 src1=0 src2=0
	s_cbranch_execz .LBB12_104
.LBB12_121:
	v_mov_b64_e32 v[2:3], s[40:41]
	v_pk_add_f32 v[0:1], v[58:59], v[62:63] neg_lo:[0,1] neg_hi:[0,1]
	v_pk_add_f32 v[4:5], v[56:57], v[60:61] neg_lo:[0,1] neg_hi:[0,1]
	s_delay_alu instid0(VALU_DEP_2) | instskip(NEXT) | instid1(VALU_DEP_2)
	v_pk_mul_f32 v[0:1], v[2:3], v[0:1]
	v_pk_mul_f32 v[2:3], v[2:3], v[4:5]
	s_set_vgpr_msb 1                        ;  msbs: dst=0 src0=1 src1=0 src2=0
	global_store_b128 v45 /*v301*/, v[0:3], s[34:35] scale_offset
	s_wait_xcnt 0x0
	s_or_b32 exec_lo, exec_lo, s1
	s_and_saveexec_b32 s1, s26
	s_set_vgpr_msb 0                        ;  msbs: dst=0 src0=0 src1=0 src2=0
	s_cbranch_execz .LBB12_105
.LBB12_122:
	v_mov_b64_e32 v[2:3], s[40:41]
	v_pk_add_f32 v[0:1], v[66:67], v[70:71] neg_lo:[0,1] neg_hi:[0,1]
	v_pk_add_f32 v[4:5], v[64:65], v[68:69] neg_lo:[0,1] neg_hi:[0,1]
	s_delay_alu instid0(VALU_DEP_2) | instskip(NEXT) | instid1(VALU_DEP_2)
	v_pk_mul_f32 v[0:1], v[2:3], v[0:1]
	v_pk_mul_f32 v[2:3], v[2:3], v[4:5]
	s_set_vgpr_msb 1                        ;  msbs: dst=0 src0=1 src1=0 src2=0
	global_store_b128 v46 /*v302*/, v[0:3], s[34:35] scale_offset
	s_wait_xcnt 0x0
	s_or_b32 exec_lo, exec_lo, s1
	s_and_saveexec_b32 s1, s27
	s_set_vgpr_msb 0                        ;  msbs: dst=0 src0=0 src1=0 src2=0
	s_cbranch_execz .LBB12_106
.LBB12_123:
	v_mov_b64_e32 v[2:3], s[40:41]
	v_pk_add_f32 v[0:1], v[74:75], v[78:79] neg_lo:[0,1] neg_hi:[0,1]
	v_pk_add_f32 v[4:5], v[72:73], v[76:77] neg_lo:[0,1] neg_hi:[0,1]
	s_delay_alu instid0(VALU_DEP_2) | instskip(NEXT) | instid1(VALU_DEP_2)
	v_pk_mul_f32 v[0:1], v[2:3], v[0:1]
	v_pk_mul_f32 v[2:3], v[2:3], v[4:5]
	s_set_vgpr_msb 1                        ;  msbs: dst=0 src0=1 src1=0 src2=0
	global_store_b128 v47 /*v303*/, v[0:3], s[34:35] scale_offset
	s_wait_xcnt 0x0
	s_or_b32 exec_lo, exec_lo, s1
	s_and_saveexec_b32 s1, s28
	s_set_vgpr_msb 0                        ;  msbs: dst=0 src0=0 src1=0 src2=0
	s_cbranch_execz .LBB12_107
.LBB12_124:
	v_mov_b64_e32 v[2:3], s[40:41]
	v_pk_add_f32 v[0:1], v[82:83], v[86:87] neg_lo:[0,1] neg_hi:[0,1]
	v_pk_add_f32 v[4:5], v[80:81], v[84:85] neg_lo:[0,1] neg_hi:[0,1]
	s_delay_alu instid0(VALU_DEP_2) | instskip(NEXT) | instid1(VALU_DEP_2)
	v_pk_mul_f32 v[0:1], v[2:3], v[0:1]
	v_pk_mul_f32 v[2:3], v[2:3], v[4:5]
	s_set_vgpr_msb 1                        ;  msbs: dst=0 src0=1 src1=0 src2=0
	global_store_b128 v48 /*v304*/, v[0:3], s[34:35] scale_offset
	s_wait_xcnt 0x0
	s_or_b32 exec_lo, exec_lo, s1
	s_and_saveexec_b32 s1, s29
	s_set_vgpr_msb 0                        ;  msbs: dst=0 src0=0 src1=0 src2=0
	s_cbranch_execz .LBB12_108
.LBB12_125:
	v_mov_b64_e32 v[2:3], s[40:41]
	v_pk_add_f32 v[0:1], v[90:91], v[94:95] neg_lo:[0,1] neg_hi:[0,1]
	v_pk_add_f32 v[4:5], v[88:89], v[92:93] neg_lo:[0,1] neg_hi:[0,1]
	s_delay_alu instid0(VALU_DEP_2) | instskip(NEXT) | instid1(VALU_DEP_2)
	v_pk_mul_f32 v[0:1], v[2:3], v[0:1]
	v_pk_mul_f32 v[2:3], v[2:3], v[4:5]
	s_set_vgpr_msb 1                        ;  msbs: dst=0 src0=1 src1=0 src2=0
	global_store_b128 v49 /*v305*/, v[0:3], s[34:35] scale_offset
	s_wait_xcnt 0x0
	s_or_b32 exec_lo, exec_lo, s1
	s_and_saveexec_b32 s1, s30
	s_set_vgpr_msb 0                        ;  msbs: dst=0 src0=0 src1=0 src2=0
	s_cbranch_execz .LBB12_109
.LBB12_126:
	v_mov_b64_e32 v[2:3], s[40:41]
	v_pk_add_f32 v[0:1], v[98:99], v[102:103] neg_lo:[0,1] neg_hi:[0,1]
	v_pk_add_f32 v[4:5], v[96:97], v[100:101] neg_lo:[0,1] neg_hi:[0,1]
	s_delay_alu instid0(VALU_DEP_2) | instskip(NEXT) | instid1(VALU_DEP_2)
	v_pk_mul_f32 v[0:1], v[2:3], v[0:1]
	v_pk_mul_f32 v[2:3], v[2:3], v[4:5]
	s_set_vgpr_msb 1                        ;  msbs: dst=0 src0=1 src1=0 src2=0
	global_store_b128 v50 /*v306*/, v[0:3], s[34:35] scale_offset
	s_wait_xcnt 0x0
	s_or_b32 exec_lo, exec_lo, s1
	s_and_saveexec_b32 s1, s31
	s_set_vgpr_msb 0                        ;  msbs: dst=0 src0=0 src1=0 src2=0
	s_cbranch_execz .LBB12_110
.LBB12_127:
	v_mov_b64_e32 v[2:3], s[40:41]
	v_pk_add_f32 v[0:1], v[106:107], v[110:111] neg_lo:[0,1] neg_hi:[0,1]
	v_pk_add_f32 v[4:5], v[104:105], v[108:109] neg_lo:[0,1] neg_hi:[0,1]
	s_delay_alu instid0(VALU_DEP_2) | instskip(NEXT) | instid1(VALU_DEP_2)
	v_pk_mul_f32 v[0:1], v[2:3], v[0:1]
	v_pk_mul_f32 v[2:3], v[2:3], v[4:5]
	s_set_vgpr_msb 1                        ;  msbs: dst=0 src0=1 src1=0 src2=0
	global_store_b128 v51 /*v307*/, v[0:3], s[34:35] scale_offset
	s_wait_xcnt 0x0
	s_or_b32 exec_lo, exec_lo, s1
	s_and_saveexec_b32 s1, s0
	s_set_vgpr_msb 0                        ;  msbs: dst=0 src0=0 src1=0 src2=0
	s_cbranch_execz .LBB12_111
.LBB12_128:
	v_mov_b64_e32 v[2:3], s[40:41]
	v_pk_add_f32 v[0:1], v[114:115], v[118:119] neg_lo:[0,1] neg_hi:[0,1]
	v_pk_add_f32 v[4:5], v[112:113], v[116:117] neg_lo:[0,1] neg_hi:[0,1]
	s_delay_alu instid0(VALU_DEP_2) | instskip(NEXT) | instid1(VALU_DEP_2)
	v_pk_mul_f32 v[0:1], v[2:3], v[0:1]
	v_pk_mul_f32 v[2:3], v[2:3], v[4:5]
	s_set_vgpr_msb 1                        ;  msbs: dst=0 src0=1 src1=0 src2=0
	global_store_b128 v52 /*v308*/, v[0:3], s[34:35] scale_offset
	s_sendmsg sendmsg(MSG_DEALLOC_VGPRS)
	s_endpgm
	.section	.rodata,"a",@progbits
	.p2align	6, 0x0
	.amdhsa_kernel _Z30fast_hadamard_transform_kernelI37fast_hadamard_transform_kernel_traitsILi256ELi15EfEEv18HadamardParamsBase
		.amdhsa_group_segment_fixed_size 0
		.amdhsa_private_segment_fixed_size 0
		.amdhsa_kernarg_size 312
		.amdhsa_user_sgpr_count 2
		.amdhsa_user_sgpr_dispatch_ptr 0
		.amdhsa_user_sgpr_queue_ptr 0
		.amdhsa_user_sgpr_kernarg_segment_ptr 1
		.amdhsa_user_sgpr_dispatch_id 0
		.amdhsa_user_sgpr_kernarg_preload_length 0
		.amdhsa_user_sgpr_kernarg_preload_offset 0
		.amdhsa_user_sgpr_private_segment_size 0
		.amdhsa_wavefront_size32 1
		.amdhsa_uses_dynamic_stack 0
		.amdhsa_enable_private_segment 0
		.amdhsa_system_sgpr_workgroup_id_x 1
		.amdhsa_system_sgpr_workgroup_id_y 0
		.amdhsa_system_sgpr_workgroup_id_z 0
		.amdhsa_system_sgpr_workgroup_info 0
		.amdhsa_system_vgpr_workitem_id 0
		.amdhsa_next_free_vgpr 309
		.amdhsa_next_free_sgpr 46
		.amdhsa_named_barrier_count 0
		.amdhsa_reserve_vcc 1
		.amdhsa_float_round_mode_32 0
		.amdhsa_float_round_mode_16_64 0
		.amdhsa_float_denorm_mode_32 3
		.amdhsa_float_denorm_mode_16_64 3
		.amdhsa_fp16_overflow 0
		.amdhsa_memory_ordered 1
		.amdhsa_forward_progress 1
		.amdhsa_inst_pref_size 253
		.amdhsa_round_robin_scheduling 0
		.amdhsa_exception_fp_ieee_invalid_op 0
		.amdhsa_exception_fp_denorm_src 0
		.amdhsa_exception_fp_ieee_div_zero 0
		.amdhsa_exception_fp_ieee_overflow 0
		.amdhsa_exception_fp_ieee_underflow 0
		.amdhsa_exception_fp_ieee_inexact 0
		.amdhsa_exception_int_div_zero 0
	.end_amdhsa_kernel
	.section	.text._Z30fast_hadamard_transform_kernelI37fast_hadamard_transform_kernel_traitsILi256ELi15EfEEv18HadamardParamsBase,"axG",@progbits,_Z30fast_hadamard_transform_kernelI37fast_hadamard_transform_kernel_traitsILi256ELi15EfEEv18HadamardParamsBase,comdat
.Lfunc_end12:
	.size	_Z30fast_hadamard_transform_kernelI37fast_hadamard_transform_kernel_traitsILi256ELi15EfEEv18HadamardParamsBase, .Lfunc_end12-_Z30fast_hadamard_transform_kernelI37fast_hadamard_transform_kernel_traitsILi256ELi15EfEEv18HadamardParamsBase
                                        ; -- End function
	.set _Z30fast_hadamard_transform_kernelI37fast_hadamard_transform_kernel_traitsILi256ELi15EfEEv18HadamardParamsBase.num_vgpr, 309
	.set _Z30fast_hadamard_transform_kernelI37fast_hadamard_transform_kernel_traitsILi256ELi15EfEEv18HadamardParamsBase.num_agpr, 0
	.set _Z30fast_hadamard_transform_kernelI37fast_hadamard_transform_kernel_traitsILi256ELi15EfEEv18HadamardParamsBase.numbered_sgpr, 46
	.set _Z30fast_hadamard_transform_kernelI37fast_hadamard_transform_kernel_traitsILi256ELi15EfEEv18HadamardParamsBase.num_named_barrier, 0
	.set _Z30fast_hadamard_transform_kernelI37fast_hadamard_transform_kernel_traitsILi256ELi15EfEEv18HadamardParamsBase.private_seg_size, 0
	.set _Z30fast_hadamard_transform_kernelI37fast_hadamard_transform_kernel_traitsILi256ELi15EfEEv18HadamardParamsBase.uses_vcc, 1
	.set _Z30fast_hadamard_transform_kernelI37fast_hadamard_transform_kernel_traitsILi256ELi15EfEEv18HadamardParamsBase.uses_flat_scratch, 0
	.set _Z30fast_hadamard_transform_kernelI37fast_hadamard_transform_kernel_traitsILi256ELi15EfEEv18HadamardParamsBase.has_dyn_sized_stack, 0
	.set _Z30fast_hadamard_transform_kernelI37fast_hadamard_transform_kernel_traitsILi256ELi15EfEEv18HadamardParamsBase.has_recursion, 0
	.set _Z30fast_hadamard_transform_kernelI37fast_hadamard_transform_kernel_traitsILi256ELi15EfEEv18HadamardParamsBase.has_indirect_call, 0
	.section	.AMDGPU.csdata,"",@progbits
; Kernel info:
; codeLenInByte = 32260
; TotalNumSgprs: 48
; NumVgprs: 309
; ScratchSize: 0
; MemoryBound: 0
; FloatMode: 240
; IeeeMode: 1
; LDSByteSize: 0 bytes/workgroup (compile time only)
; SGPRBlocks: 0
; VGPRBlocks: 19
; NumSGPRsForWavesPerEU: 48
; NumVGPRsForWavesPerEU: 309
; NamedBarCnt: 0
; Occupancy: 3
; WaveLimiterHint : 0
; COMPUTE_PGM_RSRC2:SCRATCH_EN: 0
; COMPUTE_PGM_RSRC2:USER_SGPR: 2
; COMPUTE_PGM_RSRC2:TRAP_HANDLER: 0
; COMPUTE_PGM_RSRC2:TGID_X_EN: 1
; COMPUTE_PGM_RSRC2:TGID_Y_EN: 0
; COMPUTE_PGM_RSRC2:TGID_Z_EN: 0
; COMPUTE_PGM_RSRC2:TIDIG_COMP_CNT: 0
	.section	.text._Z30fast_hadamard_transform_kernelI37fast_hadamard_transform_kernel_traitsILi1ELi3E6__halfEEv18HadamardParamsBase,"axG",@progbits,_Z30fast_hadamard_transform_kernelI37fast_hadamard_transform_kernel_traitsILi1ELi3E6__halfEEv18HadamardParamsBase,comdat
	.protected	_Z30fast_hadamard_transform_kernelI37fast_hadamard_transform_kernel_traitsILi1ELi3E6__halfEEv18HadamardParamsBase ; -- Begin function _Z30fast_hadamard_transform_kernelI37fast_hadamard_transform_kernel_traitsILi1ELi3E6__halfEEv18HadamardParamsBase
	.globl	_Z30fast_hadamard_transform_kernelI37fast_hadamard_transform_kernel_traitsILi1ELi3E6__halfEEv18HadamardParamsBase
	.p2align	8
	.type	_Z30fast_hadamard_transform_kernelI37fast_hadamard_transform_kernel_traitsILi1ELi3E6__halfEEv18HadamardParamsBase,@function
_Z30fast_hadamard_transform_kernelI37fast_hadamard_transform_kernel_traitsILi1ELi3E6__halfEEv18HadamardParamsBase: ; @_Z30fast_hadamard_transform_kernelI37fast_hadamard_transform_kernel_traitsILi1ELi3E6__halfEEv18HadamardParamsBase
; %bb.0:
	s_load_b32 s2, s[0:1], 0x4
	s_wait_kmcnt 0x0
	s_cmp_eq_u32 s2, 0
	s_cbranch_scc1 .LBB13_2
; %bb.1:
	s_clause 0x1
	s_load_b128 s[8:11], s[0:1], 0x10
	s_load_b128 s[4:7], s[0:1], 0x28
	s_bfe_u32 s2, ttmp6, 0x4000c
	s_and_b32 s3, ttmp6, 15
	s_add_co_i32 s2, s2, 1
	s_getreg_b32 s12, hwreg(HW_REG_IB_STS2, 6, 4)
	s_mul_i32 s2, ttmp9, s2
	s_load_b32 s14, s[0:1], 0x20
	s_add_co_i32 s3, s3, s2
	s_cmp_eq_u32 s12, 0
	s_cselect_b32 s12, ttmp9, s3
	s_delay_alu instid0(SALU_CYCLE_1) | instskip(SKIP_2) | instid1(SALU_CYCLE_1)
	s_ashr_i32 s13, s12, 31
	s_wait_kmcnt 0x0
	s_mul_u64 s[0:1], s[8:9], s[12:13]
	s_lshl_b64 s[0:1], s[0:1], 1
	s_delay_alu instid0(SALU_CYCLE_1)
	s_add_nc_u64 s[0:1], s[4:5], s[0:1]
	s_load_b128 s[0:3], s[0:1], 0x0
	s_wait_kmcnt 0x0
	s_cvt_f32_f16 s4, s0
	s_cvt_hi_f32_f16 s5, s0
	s_cvt_f32_f16 s8, s1
	s_cvt_hi_f32_f16 s9, s1
	;; [unrolled: 2-line block ×4, first 2 shown]
	s_sub_f32 s0, s4, s5
	s_add_f32 s1, s4, s5
	s_sub_f32 s2, s8, s9
	s_add_f32 s3, s8, s9
	;; [unrolled: 2-line block ×4, first 2 shown]
	v_mov_b64_e32 v[0:1], s[0:1]
	v_mov_b64_e32 v[2:3], s[2:3]
	;; [unrolled: 1-line block ×4, first 2 shown]
	s_mul_u64 s[0:1], s[10:11], s[12:13]
	s_delay_alu instid0(SALU_CYCLE_1) | instskip(NEXT) | instid1(VALU_DEP_3)
	s_lshl_b64 s[0:1], s[0:1], 1
	v_pk_add_f32 v[8:9], v[0:1], v[2:3]
	v_pk_add_f32 v[0:1], v[0:1], v[2:3] neg_lo:[0,1] neg_hi:[0,1]
	s_delay_alu instid0(VALU_DEP_3) | instskip(SKIP_1) | instid1(VALU_DEP_4)
	v_pk_add_f32 v[2:3], v[4:5], v[6:7]
	v_pk_add_f32 v[4:5], v[4:5], v[6:7] neg_lo:[0,1] neg_hi:[0,1]
	v_dual_mov_b32 v14, 0 :: v_dual_mov_b32 v6, v8
	s_delay_alu instid0(VALU_DEP_3) | instskip(NEXT) | instid1(VALU_DEP_3)
	v_dual_mov_b32 v7, v1 :: v_dual_mov_b32 v10, v2
	v_mov_b32_e32 v11, v5
	s_delay_alu instid0(VALU_DEP_4) | instskip(SKIP_1) | instid1(VALU_DEP_2)
	v_pk_add_f32 v[12:13], v[0:1], v[4:5] neg_lo:[0,1] neg_hi:[0,1]
	s_add_nc_u64 s[0:1], s[6:7], s[0:1]
	v_pk_add_f32 v[6:7], v[6:7], v[10:11]
	v_pk_add_f32 v[10:11], v[8:9], v[2:3] neg_lo:[0,1] neg_hi:[0,1]
	s_delay_alu instid0(VALU_DEP_2) | instskip(NEXT) | instid1(VALU_DEP_1)
	v_pk_mul_f32 v[6:7], s[14:15], v[6:7] op_sel_hi:[0,1]
	v_cvt_pk_f16_f32 v6, v6, v7
	v_dual_add_f32 v7, v9, v3 :: v_dual_add_f32 v0, v0, v4
	s_delay_alu instid0(VALU_DEP_4) | instskip(SKIP_1) | instid1(VALU_DEP_4)
	v_pk_mul_f32 v[2:3], s[14:15], v[10:11] op_sel:[0,1] op_sel_hi:[0,0]
	v_pk_mul_f32 v[4:5], s[14:15], v[12:13] op_sel:[0,1] op_sel_hi:[0,0]
	v_lshrrev_b32_e32 v1, 16, v6
	s_delay_alu instid0(VALU_DEP_4) | instskip(NEXT) | instid1(VALU_DEP_4)
	v_fma_mixlo_f16 v7, s14, v7, 0
	v_cvt_pk_f16_f32 v2, v2, v3
	s_delay_alu instid0(VALU_DEP_4) | instskip(NEXT) | instid1(VALU_DEP_4)
	v_cvt_pk_f16_f32 v3, v4, v5
	v_fma_mixhi_f16 v1, s14, v0, 0
	s_delay_alu instid0(VALU_DEP_4)
	v_pack_b32_f16 v0, v7, v6
	global_store_b128 v14, v[0:3], s[0:1]
.LBB13_2:
	s_endpgm
	.section	.rodata,"a",@progbits
	.p2align	6, 0x0
	.amdhsa_kernel _Z30fast_hadamard_transform_kernelI37fast_hadamard_transform_kernel_traitsILi1ELi3E6__halfEEv18HadamardParamsBase
		.amdhsa_group_segment_fixed_size 0
		.amdhsa_private_segment_fixed_size 0
		.amdhsa_kernarg_size 56
		.amdhsa_user_sgpr_count 2
		.amdhsa_user_sgpr_dispatch_ptr 0
		.amdhsa_user_sgpr_queue_ptr 0
		.amdhsa_user_sgpr_kernarg_segment_ptr 1
		.amdhsa_user_sgpr_dispatch_id 0
		.amdhsa_user_sgpr_kernarg_preload_length 0
		.amdhsa_user_sgpr_kernarg_preload_offset 0
		.amdhsa_user_sgpr_private_segment_size 0
		.amdhsa_wavefront_size32 1
		.amdhsa_uses_dynamic_stack 0
		.amdhsa_enable_private_segment 0
		.amdhsa_system_sgpr_workgroup_id_x 1
		.amdhsa_system_sgpr_workgroup_id_y 0
		.amdhsa_system_sgpr_workgroup_id_z 0
		.amdhsa_system_sgpr_workgroup_info 0
		.amdhsa_system_vgpr_workitem_id 0
		.amdhsa_next_free_vgpr 15
		.amdhsa_next_free_sgpr 19
		.amdhsa_named_barrier_count 0
		.amdhsa_reserve_vcc 0
		.amdhsa_float_round_mode_32 0
		.amdhsa_float_round_mode_16_64 0
		.amdhsa_float_denorm_mode_32 3
		.amdhsa_float_denorm_mode_16_64 3
		.amdhsa_fp16_overflow 0
		.amdhsa_memory_ordered 1
		.amdhsa_forward_progress 1
		.amdhsa_inst_pref_size 4
		.amdhsa_round_robin_scheduling 0
		.amdhsa_exception_fp_ieee_invalid_op 0
		.amdhsa_exception_fp_denorm_src 0
		.amdhsa_exception_fp_ieee_div_zero 0
		.amdhsa_exception_fp_ieee_overflow 0
		.amdhsa_exception_fp_ieee_underflow 0
		.amdhsa_exception_fp_ieee_inexact 0
		.amdhsa_exception_int_div_zero 0
	.end_amdhsa_kernel
	.section	.text._Z30fast_hadamard_transform_kernelI37fast_hadamard_transform_kernel_traitsILi1ELi3E6__halfEEv18HadamardParamsBase,"axG",@progbits,_Z30fast_hadamard_transform_kernelI37fast_hadamard_transform_kernel_traitsILi1ELi3E6__halfEEv18HadamardParamsBase,comdat
.Lfunc_end13:
	.size	_Z30fast_hadamard_transform_kernelI37fast_hadamard_transform_kernel_traitsILi1ELi3E6__halfEEv18HadamardParamsBase, .Lfunc_end13-_Z30fast_hadamard_transform_kernelI37fast_hadamard_transform_kernel_traitsILi1ELi3E6__halfEEv18HadamardParamsBase
                                        ; -- End function
	.set _Z30fast_hadamard_transform_kernelI37fast_hadamard_transform_kernel_traitsILi1ELi3E6__halfEEv18HadamardParamsBase.num_vgpr, 15
	.set _Z30fast_hadamard_transform_kernelI37fast_hadamard_transform_kernel_traitsILi1ELi3E6__halfEEv18HadamardParamsBase.num_agpr, 0
	.set _Z30fast_hadamard_transform_kernelI37fast_hadamard_transform_kernel_traitsILi1ELi3E6__halfEEv18HadamardParamsBase.numbered_sgpr, 19
	.set _Z30fast_hadamard_transform_kernelI37fast_hadamard_transform_kernel_traitsILi1ELi3E6__halfEEv18HadamardParamsBase.num_named_barrier, 0
	.set _Z30fast_hadamard_transform_kernelI37fast_hadamard_transform_kernel_traitsILi1ELi3E6__halfEEv18HadamardParamsBase.private_seg_size, 0
	.set _Z30fast_hadamard_transform_kernelI37fast_hadamard_transform_kernel_traitsILi1ELi3E6__halfEEv18HadamardParamsBase.uses_vcc, 0
	.set _Z30fast_hadamard_transform_kernelI37fast_hadamard_transform_kernel_traitsILi1ELi3E6__halfEEv18HadamardParamsBase.uses_flat_scratch, 0
	.set _Z30fast_hadamard_transform_kernelI37fast_hadamard_transform_kernel_traitsILi1ELi3E6__halfEEv18HadamardParamsBase.has_dyn_sized_stack, 0
	.set _Z30fast_hadamard_transform_kernelI37fast_hadamard_transform_kernel_traitsILi1ELi3E6__halfEEv18HadamardParamsBase.has_recursion, 0
	.set _Z30fast_hadamard_transform_kernelI37fast_hadamard_transform_kernel_traitsILi1ELi3E6__halfEEv18HadamardParamsBase.has_indirect_call, 0
	.section	.AMDGPU.csdata,"",@progbits
; Kernel info:
; codeLenInByte = 432
; TotalNumSgprs: 19
; NumVgprs: 15
; ScratchSize: 0
; MemoryBound: 0
; FloatMode: 240
; IeeeMode: 1
; LDSByteSize: 0 bytes/workgroup (compile time only)
; SGPRBlocks: 0
; VGPRBlocks: 0
; NumSGPRsForWavesPerEU: 19
; NumVGPRsForWavesPerEU: 15
; NamedBarCnt: 0
; Occupancy: 16
; WaveLimiterHint : 0
; COMPUTE_PGM_RSRC2:SCRATCH_EN: 0
; COMPUTE_PGM_RSRC2:USER_SGPR: 2
; COMPUTE_PGM_RSRC2:TRAP_HANDLER: 0
; COMPUTE_PGM_RSRC2:TGID_X_EN: 1
; COMPUTE_PGM_RSRC2:TGID_Y_EN: 0
; COMPUTE_PGM_RSRC2:TGID_Z_EN: 0
; COMPUTE_PGM_RSRC2:TIDIG_COMP_CNT: 0
	.section	.text._Z30fast_hadamard_transform_kernelI37fast_hadamard_transform_kernel_traitsILi2ELi4E6__halfEEv18HadamardParamsBase,"axG",@progbits,_Z30fast_hadamard_transform_kernelI37fast_hadamard_transform_kernel_traitsILi2ELi4E6__halfEEv18HadamardParamsBase,comdat
	.protected	_Z30fast_hadamard_transform_kernelI37fast_hadamard_transform_kernel_traitsILi2ELi4E6__halfEEv18HadamardParamsBase ; -- Begin function _Z30fast_hadamard_transform_kernelI37fast_hadamard_transform_kernel_traitsILi2ELi4E6__halfEEv18HadamardParamsBase
	.globl	_Z30fast_hadamard_transform_kernelI37fast_hadamard_transform_kernel_traitsILi2ELi4E6__halfEEv18HadamardParamsBase
	.p2align	8
	.type	_Z30fast_hadamard_transform_kernelI37fast_hadamard_transform_kernel_traitsILi2ELi4E6__halfEEv18HadamardParamsBase,@function
_Z30fast_hadamard_transform_kernelI37fast_hadamard_transform_kernel_traitsILi2ELi4E6__halfEEv18HadamardParamsBase: ; @_Z30fast_hadamard_transform_kernelI37fast_hadamard_transform_kernel_traitsILi2ELi4E6__halfEEv18HadamardParamsBase
; %bb.0:
	s_load_b32 s2, s[0:1], 0x4
	s_bfe_u32 s4, ttmp6, 0x4000c
	v_dual_mov_b32 v2, 0 :: v_dual_mov_b32 v4, 0
	s_add_co_i32 s4, s4, 1
	v_lshlrev_b32_e32 v1, 3, v0
	s_and_b32 s3, ttmp6, 15
	s_mul_i32 s4, ttmp9, s4
	s_getreg_b32 s5, hwreg(HW_REG_IB_STS2, 6, 4)
	s_add_co_i32 s3, s3, s4
	s_cmp_eq_u32 s5, 0
	v_dual_mov_b32 v3, v2 :: v_dual_mov_b32 v5, v2
	v_dual_mov_b32 v6, v2 :: v_dual_mov_b32 v8, v2
	;; [unrolled: 1-line block ×3, first 2 shown]
	s_cselect_b32 s4, ttmp9, s3
	s_delay_alu instid0(SALU_CYCLE_1)
	s_ashr_i32 s5, s4, 31
	s_wait_kmcnt 0x0
	v_cmp_gt_u32_e32 vcc_lo, s2, v1
	s_and_saveexec_b32 s2, vcc_lo
	s_cbranch_execz .LBB14_2
; %bb.1:
	s_clause 0x1
	s_load_b64 s[6:7], s[0:1], 0x10
	s_load_b64 s[8:9], s[0:1], 0x28
	s_wait_kmcnt 0x0
	s_mul_u64 s[6:7], s[6:7], s[4:5]
	s_delay_alu instid0(SALU_CYCLE_1) | instskip(NEXT) | instid1(SALU_CYCLE_1)
	s_lshl_b64 s[6:7], s[6:7], 1
	s_add_nc_u64 s[6:7], s[8:9], s[6:7]
	global_load_b128 v[2:5], v0, s[6:7] scale_offset
	s_wait_loadcnt 0x0
	v_cvt_f32_f16_e32 v6, v2
	v_dual_lshrrev_b32 v1, 16, v2 :: v_dual_lshrrev_b32 v9, 16, v3
	v_cvt_f32_f16_e32 v2, v4
	v_dual_lshrrev_b32 v4, 16, v4 :: v_dual_lshrrev_b32 v10, 16, v5
	v_cvt_f32_f16_e32 v7, v3
	v_cvt_f32_f16_e32 v3, v5
	;; [unrolled: 1-line block ×6, first 2 shown]
.LBB14_2:
	s_or_b32 exec_lo, exec_lo, s2
	s_delay_alu instid0(VALU_DEP_3) | instskip(SKIP_3) | instid1(VALU_DEP_4)
	v_pk_add_f32 v[10:11], v[8:9], v[6:7]
	v_mbcnt_lo_u32_b32 v1, -1, 0
	v_dual_sub_f32 v7, v7, v9 :: v_dual_sub_f32 v9, v6, v8
	v_pk_add_f32 v[12:13], v[4:5], v[2:3]
	v_dual_sub_f32 v3, v3, v5 :: v_dual_mov_b32 v8, v10
	v_dual_mov_b32 v6, v11 :: v_dual_sub_f32 v5, v2, v4
	s_delay_alu instid0(VALU_DEP_3) | instskip(NEXT) | instid1(VALU_DEP_4)
	v_dual_mov_b32 v4, v12 :: v_dual_bitop2_b32 v16, 1, v1 bitop3:0x14
	v_mov_b32_e32 v2, v13
	s_delay_alu instid0(VALU_DEP_3) | instskip(SKIP_1) | instid1(VALU_DEP_4)
	v_pk_add_f32 v[14:15], v[6:7], v[8:9]
	v_sub_f32_e32 v6, v10, v11
	v_cmp_gt_i32_e64 s2, 32, v16
	v_sub_f32_e32 v7, v9, v7
	v_pk_add_f32 v[8:9], v[2:3], v[4:5]
	v_dual_sub_f32 v2, v12, v13 :: v_dual_sub_f32 v3, v5, v3
	s_delay_alu instid0(VALU_DEP_2) | instskip(NEXT) | instid1(VALU_DEP_3)
	v_dual_cndmask_b32 v1, v1, v16, s2 :: v_dual_sub_f32 v13, v15, v9
	v_sub_f32_e32 v10, v14, v8
	v_pk_add_f32 v[4:5], v[8:9], v[14:15]
	s_delay_alu instid0(VALU_DEP_3)
	v_dual_lshlrev_b32 v16, 2, v1 :: v_dual_sub_f32 v14, v6, v2
	v_pk_add_f32 v[8:9], v[2:3], v[6:7]
	v_sub_f32_e32 v15, v7, v3
	ds_bpermute_b32 v2, v16, v4
	ds_bpermute_b32 v3, v16, v5
	;; [unrolled: 1-line block ×8, first 2 shown]
	s_and_saveexec_b32 s2, vcc_lo
	s_cbranch_execz .LBB14_4
; %bb.3:
	s_load_b96 s[8:10], s[0:1], 0x18
	v_cmp_eq_u32_e32 vcc_lo, 0, v0
	s_wait_xcnt 0x0
	s_load_b64 s[0:1], s[0:1], 0x30
	v_dual_cndmask_b32 v15, -v15, v15, vcc_lo :: v_dual_cndmask_b32 v14, -v14, v14, vcc_lo
	v_dual_cndmask_b32 v10, -v10, v10, vcc_lo :: v_dual_cndmask_b32 v5, -v5, v5, vcc_lo
	s_wait_dscnt 0x0
	s_delay_alu instid0(VALU_DEP_2) | instskip(SKIP_1) | instid1(VALU_DEP_2)
	v_dual_cndmask_b32 v13, -v13, v13, vcc_lo :: v_dual_add_f32 v15, v15, v16
	v_dual_cndmask_b32 v9, -v9, v9, vcc_lo :: v_dual_cndmask_b32 v8, -v8, v8, vcc_lo
	v_dual_cndmask_b32 v4, -v4, v4, vcc_lo :: v_dual_add_f32 v11, v13, v11
	v_add_f32_e32 v12, v14, v12
	s_delay_alu instid0(VALU_DEP_3) | instskip(NEXT) | instid1(VALU_DEP_3)
	v_pk_add_f32 v[6:7], v[8:9], v[6:7]
	v_pk_add_f32 v[2:3], v[4:5], v[2:3]
	s_wait_kmcnt 0x0
	v_dual_mul_f32 v4, s10, v15 :: v_dual_add_f32 v1, v10, v1
	v_mul_f32_e32 v5, s10, v12
	s_mov_b32 s2, s10
	v_mul_f32_e32 v10, s10, v11
	v_pk_mul_f32 v[6:7], s[2:3], v[6:7] op_sel_hi:[0,1]
	v_pk_mul_f32 v[8:9], s[2:3], v[2:3] op_sel_hi:[0,1]
	v_mul_f32_e32 v1, s10, v1
	s_mul_u64 s[2:3], s[8:9], s[4:5]
	v_cvt_pk_f16_f32 v5, v5, v4
	v_cvt_pk_f16_f32 v3, v6, v7
	;; [unrolled: 1-line block ×4, first 2 shown]
	s_lshl_b64 s[2:3], s[2:3], 1
	s_delay_alu instid0(SALU_CYCLE_1)
	s_add_nc_u64 s[0:1], s[0:1], s[2:3]
	global_store_b128 v0, v[2:5], s[0:1] scale_offset
.LBB14_4:
	s_endpgm
	.section	.rodata,"a",@progbits
	.p2align	6, 0x0
	.amdhsa_kernel _Z30fast_hadamard_transform_kernelI37fast_hadamard_transform_kernel_traitsILi2ELi4E6__halfEEv18HadamardParamsBase
		.amdhsa_group_segment_fixed_size 0
		.amdhsa_private_segment_fixed_size 0
		.amdhsa_kernarg_size 56
		.amdhsa_user_sgpr_count 2
		.amdhsa_user_sgpr_dispatch_ptr 0
		.amdhsa_user_sgpr_queue_ptr 0
		.amdhsa_user_sgpr_kernarg_segment_ptr 1
		.amdhsa_user_sgpr_dispatch_id 0
		.amdhsa_user_sgpr_kernarg_preload_length 0
		.amdhsa_user_sgpr_kernarg_preload_offset 0
		.amdhsa_user_sgpr_private_segment_size 0
		.amdhsa_wavefront_size32 1
		.amdhsa_uses_dynamic_stack 0
		.amdhsa_enable_private_segment 0
		.amdhsa_system_sgpr_workgroup_id_x 1
		.amdhsa_system_sgpr_workgroup_id_y 0
		.amdhsa_system_sgpr_workgroup_id_z 0
		.amdhsa_system_sgpr_workgroup_info 0
		.amdhsa_system_vgpr_workitem_id 0
		.amdhsa_next_free_vgpr 17
		.amdhsa_next_free_sgpr 11
		.amdhsa_named_barrier_count 0
		.amdhsa_reserve_vcc 1
		.amdhsa_float_round_mode_32 0
		.amdhsa_float_round_mode_16_64 0
		.amdhsa_float_denorm_mode_32 3
		.amdhsa_float_denorm_mode_16_64 3
		.amdhsa_fp16_overflow 0
		.amdhsa_memory_ordered 1
		.amdhsa_forward_progress 1
		.amdhsa_inst_pref_size 6
		.amdhsa_round_robin_scheduling 0
		.amdhsa_exception_fp_ieee_invalid_op 0
		.amdhsa_exception_fp_denorm_src 0
		.amdhsa_exception_fp_ieee_div_zero 0
		.amdhsa_exception_fp_ieee_overflow 0
		.amdhsa_exception_fp_ieee_underflow 0
		.amdhsa_exception_fp_ieee_inexact 0
		.amdhsa_exception_int_div_zero 0
	.end_amdhsa_kernel
	.section	.text._Z30fast_hadamard_transform_kernelI37fast_hadamard_transform_kernel_traitsILi2ELi4E6__halfEEv18HadamardParamsBase,"axG",@progbits,_Z30fast_hadamard_transform_kernelI37fast_hadamard_transform_kernel_traitsILi2ELi4E6__halfEEv18HadamardParamsBase,comdat
.Lfunc_end14:
	.size	_Z30fast_hadamard_transform_kernelI37fast_hadamard_transform_kernel_traitsILi2ELi4E6__halfEEv18HadamardParamsBase, .Lfunc_end14-_Z30fast_hadamard_transform_kernelI37fast_hadamard_transform_kernel_traitsILi2ELi4E6__halfEEv18HadamardParamsBase
                                        ; -- End function
	.set _Z30fast_hadamard_transform_kernelI37fast_hadamard_transform_kernel_traitsILi2ELi4E6__halfEEv18HadamardParamsBase.num_vgpr, 17
	.set _Z30fast_hadamard_transform_kernelI37fast_hadamard_transform_kernel_traitsILi2ELi4E6__halfEEv18HadamardParamsBase.num_agpr, 0
	.set _Z30fast_hadamard_transform_kernelI37fast_hadamard_transform_kernel_traitsILi2ELi4E6__halfEEv18HadamardParamsBase.numbered_sgpr, 11
	.set _Z30fast_hadamard_transform_kernelI37fast_hadamard_transform_kernel_traitsILi2ELi4E6__halfEEv18HadamardParamsBase.num_named_barrier, 0
	.set _Z30fast_hadamard_transform_kernelI37fast_hadamard_transform_kernel_traitsILi2ELi4E6__halfEEv18HadamardParamsBase.private_seg_size, 0
	.set _Z30fast_hadamard_transform_kernelI37fast_hadamard_transform_kernel_traitsILi2ELi4E6__halfEEv18HadamardParamsBase.uses_vcc, 1
	.set _Z30fast_hadamard_transform_kernelI37fast_hadamard_transform_kernel_traitsILi2ELi4E6__halfEEv18HadamardParamsBase.uses_flat_scratch, 0
	.set _Z30fast_hadamard_transform_kernelI37fast_hadamard_transform_kernel_traitsILi2ELi4E6__halfEEv18HadamardParamsBase.has_dyn_sized_stack, 0
	.set _Z30fast_hadamard_transform_kernelI37fast_hadamard_transform_kernel_traitsILi2ELi4E6__halfEEv18HadamardParamsBase.has_recursion, 0
	.set _Z30fast_hadamard_transform_kernelI37fast_hadamard_transform_kernel_traitsILi2ELi4E6__halfEEv18HadamardParamsBase.has_indirect_call, 0
	.section	.AMDGPU.csdata,"",@progbits
; Kernel info:
; codeLenInByte = 708
; TotalNumSgprs: 13
; NumVgprs: 17
; ScratchSize: 0
; MemoryBound: 0
; FloatMode: 240
; IeeeMode: 1
; LDSByteSize: 0 bytes/workgroup (compile time only)
; SGPRBlocks: 0
; VGPRBlocks: 1
; NumSGPRsForWavesPerEU: 13
; NumVGPRsForWavesPerEU: 17
; NamedBarCnt: 0
; Occupancy: 16
; WaveLimiterHint : 0
; COMPUTE_PGM_RSRC2:SCRATCH_EN: 0
; COMPUTE_PGM_RSRC2:USER_SGPR: 2
; COMPUTE_PGM_RSRC2:TRAP_HANDLER: 0
; COMPUTE_PGM_RSRC2:TGID_X_EN: 1
; COMPUTE_PGM_RSRC2:TGID_Y_EN: 0
; COMPUTE_PGM_RSRC2:TGID_Z_EN: 0
; COMPUTE_PGM_RSRC2:TIDIG_COMP_CNT: 0
	.section	.text._Z30fast_hadamard_transform_kernelI37fast_hadamard_transform_kernel_traitsILi4ELi5E6__halfEEv18HadamardParamsBase,"axG",@progbits,_Z30fast_hadamard_transform_kernelI37fast_hadamard_transform_kernel_traitsILi4ELi5E6__halfEEv18HadamardParamsBase,comdat
	.protected	_Z30fast_hadamard_transform_kernelI37fast_hadamard_transform_kernel_traitsILi4ELi5E6__halfEEv18HadamardParamsBase ; -- Begin function _Z30fast_hadamard_transform_kernelI37fast_hadamard_transform_kernel_traitsILi4ELi5E6__halfEEv18HadamardParamsBase
	.globl	_Z30fast_hadamard_transform_kernelI37fast_hadamard_transform_kernel_traitsILi4ELi5E6__halfEEv18HadamardParamsBase
	.p2align	8
	.type	_Z30fast_hadamard_transform_kernelI37fast_hadamard_transform_kernel_traitsILi4ELi5E6__halfEEv18HadamardParamsBase,@function
_Z30fast_hadamard_transform_kernelI37fast_hadamard_transform_kernel_traitsILi4ELi5E6__halfEEv18HadamardParamsBase: ; @_Z30fast_hadamard_transform_kernelI37fast_hadamard_transform_kernel_traitsILi4ELi5E6__halfEEv18HadamardParamsBase
; %bb.0:
	s_load_b32 s2, s[0:1], 0x4
	s_bfe_u32 s4, ttmp6, 0x4000c
	v_dual_mov_b32 v2, 0 :: v_dual_lshlrev_b32 v1, 3, v0
	s_add_co_i32 s4, s4, 1
	s_and_b32 s3, ttmp6, 15
	s_mul_i32 s4, ttmp9, s4
	s_getreg_b32 s5, hwreg(HW_REG_IB_STS2, 6, 4)
	s_add_co_i32 s3, s3, s4
	s_cmp_eq_u32 s5, 0
	v_dual_mov_b32 v3, v2 :: v_dual_mov_b32 v4, v2
	v_dual_mov_b32 v5, v2 :: v_dual_mov_b32 v6, v2
	;; [unrolled: 1-line block ×3, first 2 shown]
	v_mov_b32_e32 v9, v2
	s_cselect_b32 s4, ttmp9, s3
	s_delay_alu instid0(SALU_CYCLE_1)
	s_ashr_i32 s5, s4, 31
	s_wait_kmcnt 0x0
	v_cmp_gt_u32_e32 vcc_lo, s2, v1
	s_and_saveexec_b32 s2, vcc_lo
	s_cbranch_execz .LBB15_2
; %bb.1:
	s_clause 0x1
	s_load_b64 s[6:7], s[0:1], 0x10
	s_load_b64 s[8:9], s[0:1], 0x28
	s_wait_kmcnt 0x0
	s_mul_u64 s[6:7], s[6:7], s[4:5]
	s_delay_alu instid0(SALU_CYCLE_1) | instskip(NEXT) | instid1(SALU_CYCLE_1)
	s_lshl_b64 s[6:7], s[6:7], 1
	s_add_nc_u64 s[6:7], s[8:9], s[6:7]
	global_load_b128 v[10:13], v0, s[6:7] scale_offset
	s_wait_loadcnt 0x0
	v_cvt_f32_f16_e32 v8, v10
	v_dual_lshrrev_b32 v1, 16, v10 :: v_dual_lshrrev_b32 v3, 16, v11
	v_dual_lshrrev_b32 v5, 16, v12 :: v_dual_lshrrev_b32 v10, 16, v13
	v_cvt_f32_f16_e32 v6, v11
	v_cvt_f32_f16_e32 v4, v12
	;; [unrolled: 1-line block ×7, first 2 shown]
.LBB15_2:
	s_or_b32 exec_lo, exec_lo, s2
	v_mbcnt_lo_u32_b32 v1, -1, 0
	v_pk_add_f32 v[10:11], v[8:9], v[8:9] op_sel_hi:[0,1] neg_lo:[0,1] neg_hi:[0,1]
	v_add_f32_e32 v10, v8, v9
	v_pk_add_f32 v[8:9], v[6:7], v[6:7] op_sel_hi:[0,1] neg_lo:[0,1] neg_hi:[0,1]
	v_add_f32_e32 v8, v6, v7
	;; [unrolled: 2-line block ×3, first 2 shown]
	v_xor_b32_e32 v4, 1, v1
	v_pk_add_f32 v[12:13], v[2:3], v[2:3] op_sel_hi:[0,1] neg_lo:[0,1] neg_hi:[0,1]
	v_add_f32_e32 v12, v2, v3
	v_pk_add_f32 v[2:3], v[10:11], v[8:9] neg_lo:[0,1] neg_hi:[0,1]
	v_pk_add_f32 v[8:9], v[8:9], v[10:11]
	v_cmp_gt_i32_e64 s2, 32, v4
	s_delay_alu instid0(VALU_DEP_1) | instskip(SKIP_2) | instid1(VALU_DEP_2)
	v_cndmask_b32_e64 v14, v1, v4, s2
	v_pk_add_f32 v[4:5], v[6:7], v[12:13] neg_lo:[0,1] neg_hi:[0,1]
	v_pk_add_f32 v[6:7], v[12:13], v[6:7]
	v_pk_add_f32 v[10:11], v[4:5], v[2:3]
	v_and_b32_e32 v18, 1, v0
	s_delay_alu instid0(VALU_DEP_3) | instskip(SKIP_2) | instid1(VALU_DEP_4)
	v_pk_add_f32 v[12:13], v[6:7], v[8:9]
	v_pk_add_f32 v[4:5], v[2:3], v[4:5] neg_lo:[0,1] neg_hi:[0,1]
	v_pk_add_f32 v[6:7], v[8:9], v[6:7] neg_lo:[0,1] neg_hi:[0,1]
	v_cmp_eq_u32_e64 s2, 0, v18
	s_delay_alu instid0(VALU_DEP_1)
	v_dual_cndmask_b32 v3, -v11, v11, s2 :: v_dual_lshlrev_b32 v16, 2, v14
	v_cndmask_b32_e64 v2, -v10, v10, s2
	ds_bpermute_b32 v14, v16, v10
	ds_bpermute_b32 v15, v16, v11
	ds_bpermute_b32 v17, v16, v12
	ds_bpermute_b32 v18, v16, v13
	ds_bpermute_b32 v8, v16, v6
	ds_bpermute_b32 v9, v16, v7
	ds_bpermute_b32 v19, v16, v4
	ds_bpermute_b32 v16, v16, v5
	v_dual_cndmask_b32 v10, -v12, v12, s2 :: v_dual_bitop2_b32 v12, 2, v1 bitop3:0x14
	v_dual_cndmask_b32 v6, -v6, v6, s2 :: v_dual_cndmask_b32 v7, -v7, v7, s2
	s_delay_alu instid0(VALU_DEP_2) | instskip(NEXT) | instid1(VALU_DEP_1)
	v_cmp_gt_i32_e64 s3, 32, v12
	v_cndmask_b32_e64 v1, v1, v12, s3
	v_cndmask_b32_e64 v12, -v4, v4, s2
	s_wait_dscnt 0x6
	v_pk_add_f32 v[2:3], v[2:3], v[14:15]
	s_wait_dscnt 0x5
	v_add_f32_e32 v11, v10, v17
	v_cndmask_b32_e64 v10, -v13, v13, s2
	v_cndmask_b32_e64 v15, -v5, v5, s2
	s_wait_dscnt 0x1
	v_dual_add_f32 v14, v12, v19 :: v_dual_lshlrev_b32 v17, 2, v1
	v_pk_add_f32 v[4:5], v[6:7], v[8:9]
	s_wait_dscnt 0x0
	v_dual_add_f32 v13, v10, v18 :: v_dual_add_f32 v15, v15, v16
	ds_bpermute_b32 v1, v17, v11
	ds_bpermute_b32 v8, v17, v2
	;; [unrolled: 1-line block ×8, first 2 shown]
	s_and_saveexec_b32 s2, vcc_lo
	s_cbranch_execz .LBB15_4
; %bb.3:
	v_and_b32_e32 v17, 2, v0
	s_load_b96 s[8:10], s[0:1], 0x18
	s_delay_alu instid0(VALU_DEP_1)
	v_cmp_eq_u32_e32 vcc_lo, 0, v17
	s_wait_xcnt 0x0
	s_load_b64 s[0:1], s[0:1], 0x30
	v_dual_cndmask_b32 v15, -v15, v15, vcc_lo :: v_dual_cndmask_b32 v13, -v13, v13, vcc_lo
	v_cndmask_b32_e64 v11, -v11, v11, vcc_lo
	v_dual_cndmask_b32 v3, -v3, v3, vcc_lo :: v_dual_cndmask_b32 v2, -v2, v2, vcc_lo
	s_wait_dscnt 0x0
	s_delay_alu instid0(VALU_DEP_3) | instskip(SKIP_2) | instid1(VALU_DEP_3)
	v_dual_add_f32 v15, v15, v16 :: v_dual_cndmask_b32 v14, -v14, v14, vcc_lo
	v_dual_cndmask_b32 v5, -v5, v5, vcc_lo :: v_dual_cndmask_b32 v4, -v4, v4, vcc_lo
	v_dual_add_f32 v1, v11, v1 :: v_dual_add_f32 v10, v13, v10
	v_add_f32_e32 v12, v14, v12
	v_pk_add_f32 v[2:3], v[2:3], v[8:9]
	s_delay_alu instid0(VALU_DEP_4)
	v_pk_add_f32 v[4:5], v[4:5], v[6:7]
	s_wait_kmcnt 0x0
	s_mov_b32 s2, s10
	v_dual_mul_f32 v6, s10, v15 :: v_dual_mul_f32 v7, s10, v12
	v_mul_f32_e32 v8, s10, v10
	v_pk_mul_f32 v[2:3], s[2:3], v[2:3] op_sel_hi:[0,1]
	v_pk_mul_f32 v[4:5], s[2:3], v[4:5] op_sel_hi:[0,1]
	v_mul_f32_e32 v1, s10, v1
	s_mul_u64 s[2:3], s[8:9], s[4:5]
	s_delay_alu instid0(VALU_DEP_3) | instskip(NEXT) | instid1(VALU_DEP_3)
	v_cvt_pk_f16_f32 v3, v2, v3
	v_cvt_pk_f16_f32 v4, v4, v5
	v_cvt_pk_f16_f32 v5, v7, v6
	v_cvt_pk_f16_f32 v2, v1, v8
	s_lshl_b64 s[2:3], s[2:3], 1
	s_delay_alu instid0(SALU_CYCLE_1)
	s_add_nc_u64 s[0:1], s[0:1], s[2:3]
	global_store_b128 v0, v[2:5], s[0:1] scale_offset
.LBB15_4:
	s_endpgm
	.section	.rodata,"a",@progbits
	.p2align	6, 0x0
	.amdhsa_kernel _Z30fast_hadamard_transform_kernelI37fast_hadamard_transform_kernel_traitsILi4ELi5E6__halfEEv18HadamardParamsBase
		.amdhsa_group_segment_fixed_size 0
		.amdhsa_private_segment_fixed_size 0
		.amdhsa_kernarg_size 56
		.amdhsa_user_sgpr_count 2
		.amdhsa_user_sgpr_dispatch_ptr 0
		.amdhsa_user_sgpr_queue_ptr 0
		.amdhsa_user_sgpr_kernarg_segment_ptr 1
		.amdhsa_user_sgpr_dispatch_id 0
		.amdhsa_user_sgpr_kernarg_preload_length 0
		.amdhsa_user_sgpr_kernarg_preload_offset 0
		.amdhsa_user_sgpr_private_segment_size 0
		.amdhsa_wavefront_size32 1
		.amdhsa_uses_dynamic_stack 0
		.amdhsa_enable_private_segment 0
		.amdhsa_system_sgpr_workgroup_id_x 1
		.amdhsa_system_sgpr_workgroup_id_y 0
		.amdhsa_system_sgpr_workgroup_id_z 0
		.amdhsa_system_sgpr_workgroup_info 0
		.amdhsa_system_vgpr_workitem_id 0
		.amdhsa_next_free_vgpr 20
		.amdhsa_next_free_sgpr 11
		.amdhsa_named_barrier_count 0
		.amdhsa_reserve_vcc 1
		.amdhsa_float_round_mode_32 0
		.amdhsa_float_round_mode_16_64 0
		.amdhsa_float_denorm_mode_32 3
		.amdhsa_float_denorm_mode_16_64 3
		.amdhsa_fp16_overflow 0
		.amdhsa_memory_ordered 1
		.amdhsa_forward_progress 1
		.amdhsa_inst_pref_size 8
		.amdhsa_round_robin_scheduling 0
		.amdhsa_exception_fp_ieee_invalid_op 0
		.amdhsa_exception_fp_denorm_src 0
		.amdhsa_exception_fp_ieee_div_zero 0
		.amdhsa_exception_fp_ieee_overflow 0
		.amdhsa_exception_fp_ieee_underflow 0
		.amdhsa_exception_fp_ieee_inexact 0
		.amdhsa_exception_int_div_zero 0
	.end_amdhsa_kernel
	.section	.text._Z30fast_hadamard_transform_kernelI37fast_hadamard_transform_kernel_traitsILi4ELi5E6__halfEEv18HadamardParamsBase,"axG",@progbits,_Z30fast_hadamard_transform_kernelI37fast_hadamard_transform_kernel_traitsILi4ELi5E6__halfEEv18HadamardParamsBase,comdat
.Lfunc_end15:
	.size	_Z30fast_hadamard_transform_kernelI37fast_hadamard_transform_kernel_traitsILi4ELi5E6__halfEEv18HadamardParamsBase, .Lfunc_end15-_Z30fast_hadamard_transform_kernelI37fast_hadamard_transform_kernel_traitsILi4ELi5E6__halfEEv18HadamardParamsBase
                                        ; -- End function
	.set _Z30fast_hadamard_transform_kernelI37fast_hadamard_transform_kernel_traitsILi4ELi5E6__halfEEv18HadamardParamsBase.num_vgpr, 20
	.set _Z30fast_hadamard_transform_kernelI37fast_hadamard_transform_kernel_traitsILi4ELi5E6__halfEEv18HadamardParamsBase.num_agpr, 0
	.set _Z30fast_hadamard_transform_kernelI37fast_hadamard_transform_kernel_traitsILi4ELi5E6__halfEEv18HadamardParamsBase.numbered_sgpr, 11
	.set _Z30fast_hadamard_transform_kernelI37fast_hadamard_transform_kernel_traitsILi4ELi5E6__halfEEv18HadamardParamsBase.num_named_barrier, 0
	.set _Z30fast_hadamard_transform_kernelI37fast_hadamard_transform_kernel_traitsILi4ELi5E6__halfEEv18HadamardParamsBase.private_seg_size, 0
	.set _Z30fast_hadamard_transform_kernelI37fast_hadamard_transform_kernel_traitsILi4ELi5E6__halfEEv18HadamardParamsBase.uses_vcc, 1
	.set _Z30fast_hadamard_transform_kernelI37fast_hadamard_transform_kernel_traitsILi4ELi5E6__halfEEv18HadamardParamsBase.uses_flat_scratch, 0
	.set _Z30fast_hadamard_transform_kernelI37fast_hadamard_transform_kernel_traitsILi4ELi5E6__halfEEv18HadamardParamsBase.has_dyn_sized_stack, 0
	.set _Z30fast_hadamard_transform_kernelI37fast_hadamard_transform_kernel_traitsILi4ELi5E6__halfEEv18HadamardParamsBase.has_recursion, 0
	.set _Z30fast_hadamard_transform_kernelI37fast_hadamard_transform_kernel_traitsILi4ELi5E6__halfEEv18HadamardParamsBase.has_indirect_call, 0
	.section	.AMDGPU.csdata,"",@progbits
; Kernel info:
; codeLenInByte = 900
; TotalNumSgprs: 13
; NumVgprs: 20
; ScratchSize: 0
; MemoryBound: 0
; FloatMode: 240
; IeeeMode: 1
; LDSByteSize: 0 bytes/workgroup (compile time only)
; SGPRBlocks: 0
; VGPRBlocks: 1
; NumSGPRsForWavesPerEU: 13
; NumVGPRsForWavesPerEU: 20
; NamedBarCnt: 0
; Occupancy: 16
; WaveLimiterHint : 0
; COMPUTE_PGM_RSRC2:SCRATCH_EN: 0
; COMPUTE_PGM_RSRC2:USER_SGPR: 2
; COMPUTE_PGM_RSRC2:TRAP_HANDLER: 0
; COMPUTE_PGM_RSRC2:TGID_X_EN: 1
; COMPUTE_PGM_RSRC2:TGID_Y_EN: 0
; COMPUTE_PGM_RSRC2:TGID_Z_EN: 0
; COMPUTE_PGM_RSRC2:TIDIG_COMP_CNT: 0
	.section	.text._Z30fast_hadamard_transform_kernelI37fast_hadamard_transform_kernel_traitsILi8ELi6E6__halfEEv18HadamardParamsBase,"axG",@progbits,_Z30fast_hadamard_transform_kernelI37fast_hadamard_transform_kernel_traitsILi8ELi6E6__halfEEv18HadamardParamsBase,comdat
	.protected	_Z30fast_hadamard_transform_kernelI37fast_hadamard_transform_kernel_traitsILi8ELi6E6__halfEEv18HadamardParamsBase ; -- Begin function _Z30fast_hadamard_transform_kernelI37fast_hadamard_transform_kernel_traitsILi8ELi6E6__halfEEv18HadamardParamsBase
	.globl	_Z30fast_hadamard_transform_kernelI37fast_hadamard_transform_kernel_traitsILi8ELi6E6__halfEEv18HadamardParamsBase
	.p2align	8
	.type	_Z30fast_hadamard_transform_kernelI37fast_hadamard_transform_kernel_traitsILi8ELi6E6__halfEEv18HadamardParamsBase,@function
_Z30fast_hadamard_transform_kernelI37fast_hadamard_transform_kernel_traitsILi8ELi6E6__halfEEv18HadamardParamsBase: ; @_Z30fast_hadamard_transform_kernelI37fast_hadamard_transform_kernel_traitsILi8ELi6E6__halfEEv18HadamardParamsBase
; %bb.0:
	s_load_b32 s2, s[0:1], 0x4
	s_bfe_u32 s4, ttmp6, 0x4000c
	v_dual_lshlrev_b32 v8, 3, v0 :: v_dual_mov_b32 v4, 0
	s_add_co_i32 s4, s4, 1
	s_and_b32 s3, ttmp6, 15
	s_mul_i32 s4, ttmp9, s4
	s_getreg_b32 s5, hwreg(HW_REG_IB_STS2, 6, 4)
	s_add_co_i32 s3, s3, s4
	s_cmp_eq_u32 s5, 0
	v_dual_mov_b32 v2, 0 :: v_dual_mov_b32 v5, 0
	v_dual_mov_b32 v1, 0 :: v_dual_mov_b32 v6, 0
	;; [unrolled: 1-line block ×3, first 2 shown]
	s_cselect_b32 s4, ttmp9, s3
	s_delay_alu instid0(SALU_CYCLE_1)
	s_ashr_i32 s5, s4, 31
	s_wait_kmcnt 0x0
	v_cmp_gt_u32_e32 vcc_lo, s2, v8
	v_mov_b32_e32 v8, 0
	s_and_saveexec_b32 s2, vcc_lo
	s_cbranch_execz .LBB16_2
; %bb.1:
	s_clause 0x1
	s_load_b64 s[6:7], s[0:1], 0x10
	s_load_b64 s[8:9], s[0:1], 0x28
	s_wait_kmcnt 0x0
	s_mul_u64 s[6:7], s[6:7], s[4:5]
	s_delay_alu instid0(SALU_CYCLE_1) | instskip(NEXT) | instid1(SALU_CYCLE_1)
	s_lshl_b64 s[6:7], s[6:7], 1
	s_add_nc_u64 s[6:7], s[8:9], s[6:7]
	global_load_b128 v[6:9], v0, s[6:7] scale_offset
	s_wait_loadcnt 0x0
	v_cvt_f32_f16_e32 v4, v6
	v_dual_lshrrev_b32 v5, 16, v6 :: v_dual_lshrrev_b32 v6, 16, v7
	v_dual_lshrrev_b32 v10, 16, v8 :: v_dual_lshrrev_b32 v11, 16, v9
	v_cvt_f32_f16_e32 v3, v7
	v_cvt_f32_f16_e32 v1, v8
	v_cvt_f32_f16_e32 v2, v9
	v_cvt_f32_f16_e32 v8, v5
	v_cvt_f32_f16_e32 v7, v6
	v_cvt_f32_f16_e32 v6, v10
	v_cvt_f32_f16_e32 v5, v11
.LBB16_2:
	s_or_b32 exec_lo, exec_lo, s2
	v_mbcnt_lo_u32_b32 v18, -1, 0
	v_dual_add_f32 v10, v7, v3 :: v_dual_add_f32 v12, v8, v4
	v_dual_sub_f32 v11, v3, v7 :: v_dual_sub_f32 v13, v4, v8
	s_delay_alu instid0(VALU_DEP_3) | instskip(SKIP_1) | instid1(VALU_DEP_4)
	v_dual_add_f32 v8, v6, v1 :: v_dual_bitop2_b32 v3, 1, v18 bitop3:0x14
	v_dual_add_f32 v4, v5, v2 :: v_dual_sub_f32 v5, v2, v5
	v_sub_f32_e32 v7, v12, v10
	s_delay_alu instid0(VALU_DEP_3) | instskip(SKIP_2) | instid1(VALU_DEP_3)
	v_cmp_gt_i32_e64 s2, 32, v3
	v_sub_f32_e32 v9, v1, v6
	v_dual_sub_f32 v6, v13, v11 :: v_dual_bitop2_b32 v19, 1, v0 bitop3:0x40
	v_cndmask_b32_e64 v1, v18, v3, s2
	v_pk_add_f32 v[2:3], v[10:11], v[12:13]
	s_delay_alu instid0(VALU_DEP_4) | instskip(SKIP_1) | instid1(VALU_DEP_4)
	v_pk_add_f32 v[10:11], v[4:5], v[8:9]
	v_dual_sub_f32 v12, v9, v5 :: v_dual_sub_f32 v13, v8, v4
	v_dual_lshlrev_b32 v1, 2, v1 :: v_dual_bitop2_b32 v20, 2, v18 bitop3:0x14
	s_delay_alu instid0(VALU_DEP_3) | instskip(SKIP_1) | instid1(VALU_DEP_4)
	v_pk_add_f32 v[4:5], v[10:11], v[2:3] op_sel:[1,1] op_sel_hi:[0,0]
	v_sub_f32_e32 v11, v3, v11
	v_pk_add_f32 v[8:9], v[12:13], v[6:7]
	v_cmp_eq_u32_e64 s2, 0, v19
	v_cmp_gt_i32_e64 s3, 32, v20
	ds_bpermute_b32 v14, v1, v5
	ds_bpermute_b32 v15, v1, v4
	;; [unrolled: 1-line block ×4, first 2 shown]
	v_dual_sub_f32 v10, v2, v10 :: v_dual_cndmask_b32 v3, -v4, v4, s2
	v_dual_cndmask_b32 v19, v18, v20, s3 :: v_dual_sub_f32 v7, v7, v13
	v_dual_sub_f32 v12, v6, v12 :: v_dual_cndmask_b32 v2, -v5, v5, s2
	ds_bpermute_b32 v13, v1, v10
	ds_bpermute_b32 v20, v1, v11
	;; [unrolled: 1-line block ×4, first 2 shown]
	v_dual_cndmask_b32 v5, -v8, v8, s2 :: v_dual_cndmask_b32 v4, -v9, v9, s2
	v_dual_lshlrev_b32 v19, 2, v19 :: v_dual_cndmask_b32 v10, -v10, v10, s2
	v_dual_cndmask_b32 v11, -v11, v11, s2 :: v_dual_cndmask_b32 v12, -v12, v12, s2
	s_wait_dscnt 0x6
	v_pk_add_f32 v[2:3], v[2:3], v[14:15]
	v_dual_cndmask_b32 v14, -v7, v7, s2 :: v_dual_bitop2_b32 v15, 2, v0 bitop3:0x40
	s_wait_dscnt 0x4
	v_pk_add_f32 v[4:5], v[4:5], v[16:17]
	ds_bpermute_b32 v6, v19, v2
	ds_bpermute_b32 v7, v19, v3
	v_cmp_eq_u32_e64 s2, 0, v15
	ds_bpermute_b32 v8, v19, v4
	ds_bpermute_b32 v9, v19, v5
	s_wait_dscnt 0x6
	v_dual_add_f32 v10, v10, v13 :: v_dual_add_f32 v11, v11, v20
	s_wait_dscnt 0x5
	v_dual_add_f32 v13, v14, v21 :: v_dual_cndmask_b32 v3, -v3, v3, s2
	s_wait_dscnt 0x4
	v_dual_add_f32 v1, v12, v1 :: v_dual_cndmask_b32 v2, -v2, v2, s2
	ds_bpermute_b32 v12, v19, v10
	ds_bpermute_b32 v14, v19, v11
	;; [unrolled: 1-line block ×4, first 2 shown]
	v_dual_cndmask_b32 v5, -v5, v5, s2 :: v_dual_cndmask_b32 v4, -v4, v4, s2
	v_xor_b32_e32 v17, 4, v18
	s_wait_dscnt 0x6
	v_pk_add_f32 v[6:7], v[2:3], v[6:7]
	v_cndmask_b32_e64 v3, -v10, v10, s2
	s_wait_dscnt 0x4
	v_pk_add_f32 v[4:5], v[4:5], v[8:9]
	v_cndmask_b32_e64 v8, -v11, v11, s2
	v_cmp_gt_i32_e64 s3, 32, v17
	v_cndmask_b32_e64 v9, -v13, v13, s2
	s_wait_dscnt 0x3
	s_delay_alu instid0(VALU_DEP_2) | instskip(SKIP_3) | instid1(VALU_DEP_2)
	v_dual_cndmask_b32 v2, v18, v17, s3 :: v_dual_add_f32 v12, v3, v12
	s_wait_dscnt 0x2
	v_dual_cndmask_b32 v1, -v1, v1, s2 :: v_dual_add_f32 v13, v8, v14
	s_wait_dscnt 0x1
	v_dual_add_f32 v14, v9, v15 :: v_dual_lshlrev_b32 v17, 2, v2
	s_wait_dscnt 0x0
	s_delay_alu instid0(VALU_DEP_2)
	v_add_f32_e32 v15, v1, v16
	ds_bpermute_b32 v2, v17, v6
	ds_bpermute_b32 v3, v17, v7
	;; [unrolled: 1-line block ×8, first 2 shown]
	s_and_saveexec_b32 s2, vcc_lo
	s_cbranch_execz .LBB16_4
; %bb.3:
	v_and_b32_e32 v17, 4, v0
	s_load_b96 s[8:10], s[0:1], 0x18
	s_delay_alu instid0(VALU_DEP_1)
	v_cmp_eq_u32_e32 vcc_lo, 0, v17
	s_wait_xcnt 0x0
	s_load_b64 s[0:1], s[0:1], 0x30
	v_dual_cndmask_b32 v15, -v15, v15, vcc_lo :: v_dual_cndmask_b32 v13, -v13, v13, vcc_lo
	v_dual_cndmask_b32 v12, -v12, v12, vcc_lo :: v_dual_cndmask_b32 v7, -v7, v7, vcc_lo
	s_wait_dscnt 0x0
	s_delay_alu instid0(VALU_DEP_2) | instskip(SKIP_1) | instid1(VALU_DEP_3)
	v_dual_cndmask_b32 v5, -v5, v5, vcc_lo :: v_dual_add_f32 v15, v15, v16
	v_dual_cndmask_b32 v14, -v14, v14, vcc_lo :: v_dual_cndmask_b32 v4, -v4, v4, vcc_lo
	v_dual_cndmask_b32 v6, -v6, v6, vcc_lo :: v_dual_add_f32 v1, v12, v1
	s_delay_alu instid0(VALU_DEP_2) | instskip(NEXT) | instid1(VALU_DEP_3)
	v_dual_add_f32 v10, v13, v10 :: v_dual_add_f32 v11, v14, v11
	v_pk_add_f32 v[4:5], v[4:5], v[8:9]
	s_delay_alu instid0(VALU_DEP_3)
	v_pk_add_f32 v[2:3], v[6:7], v[2:3]
	s_wait_kmcnt 0x0
	s_mov_b32 s2, s10
	v_mul_f32_e32 v8, s10, v15
	v_dual_mul_f32 v9, s10, v11 :: v_dual_mul_f32 v10, s10, v10
	v_pk_mul_f32 v[4:5], s[2:3], v[4:5] op_sel_hi:[0,1]
	v_pk_mul_f32 v[6:7], s[2:3], v[2:3] op_sel_hi:[0,1]
	v_mul_f32_e32 v1, s10, v1
	s_mul_u64 s[2:3], s[8:9], s[4:5]
	s_delay_alu instid0(VALU_DEP_3) | instskip(NEXT) | instid1(VALU_DEP_3)
	v_cvt_pk_f16_f32 v3, v4, v5
	v_cvt_pk_f16_f32 v2, v6, v7
	;; [unrolled: 1-line block ×4, first 2 shown]
	s_lshl_b64 s[2:3], s[2:3], 1
	s_delay_alu instid0(SALU_CYCLE_1)
	s_add_nc_u64 s[0:1], s[0:1], s[2:3]
	global_store_b128 v0, v[2:5], s[0:1] scale_offset
.LBB16_4:
	s_endpgm
	.section	.rodata,"a",@progbits
	.p2align	6, 0x0
	.amdhsa_kernel _Z30fast_hadamard_transform_kernelI37fast_hadamard_transform_kernel_traitsILi8ELi6E6__halfEEv18HadamardParamsBase
		.amdhsa_group_segment_fixed_size 0
		.amdhsa_private_segment_fixed_size 0
		.amdhsa_kernarg_size 56
		.amdhsa_user_sgpr_count 2
		.amdhsa_user_sgpr_dispatch_ptr 0
		.amdhsa_user_sgpr_queue_ptr 0
		.amdhsa_user_sgpr_kernarg_segment_ptr 1
		.amdhsa_user_sgpr_dispatch_id 0
		.amdhsa_user_sgpr_kernarg_preload_length 0
		.amdhsa_user_sgpr_kernarg_preload_offset 0
		.amdhsa_user_sgpr_private_segment_size 0
		.amdhsa_wavefront_size32 1
		.amdhsa_uses_dynamic_stack 0
		.amdhsa_enable_private_segment 0
		.amdhsa_system_sgpr_workgroup_id_x 1
		.amdhsa_system_sgpr_workgroup_id_y 0
		.amdhsa_system_sgpr_workgroup_id_z 0
		.amdhsa_system_sgpr_workgroup_info 0
		.amdhsa_system_vgpr_workitem_id 0
		.amdhsa_next_free_vgpr 22
		.amdhsa_next_free_sgpr 11
		.amdhsa_named_barrier_count 0
		.amdhsa_reserve_vcc 1
		.amdhsa_float_round_mode_32 0
		.amdhsa_float_round_mode_16_64 0
		.amdhsa_float_denorm_mode_32 3
		.amdhsa_float_denorm_mode_16_64 3
		.amdhsa_fp16_overflow 0
		.amdhsa_memory_ordered 1
		.amdhsa_forward_progress 1
		.amdhsa_inst_pref_size 9
		.amdhsa_round_robin_scheduling 0
		.amdhsa_exception_fp_ieee_invalid_op 0
		.amdhsa_exception_fp_denorm_src 0
		.amdhsa_exception_fp_ieee_div_zero 0
		.amdhsa_exception_fp_ieee_overflow 0
		.amdhsa_exception_fp_ieee_underflow 0
		.amdhsa_exception_fp_ieee_inexact 0
		.amdhsa_exception_int_div_zero 0
	.end_amdhsa_kernel
	.section	.text._Z30fast_hadamard_transform_kernelI37fast_hadamard_transform_kernel_traitsILi8ELi6E6__halfEEv18HadamardParamsBase,"axG",@progbits,_Z30fast_hadamard_transform_kernelI37fast_hadamard_transform_kernel_traitsILi8ELi6E6__halfEEv18HadamardParamsBase,comdat
.Lfunc_end16:
	.size	_Z30fast_hadamard_transform_kernelI37fast_hadamard_transform_kernel_traitsILi8ELi6E6__halfEEv18HadamardParamsBase, .Lfunc_end16-_Z30fast_hadamard_transform_kernelI37fast_hadamard_transform_kernel_traitsILi8ELi6E6__halfEEv18HadamardParamsBase
                                        ; -- End function
	.set _Z30fast_hadamard_transform_kernelI37fast_hadamard_transform_kernel_traitsILi8ELi6E6__halfEEv18HadamardParamsBase.num_vgpr, 22
	.set _Z30fast_hadamard_transform_kernelI37fast_hadamard_transform_kernel_traitsILi8ELi6E6__halfEEv18HadamardParamsBase.num_agpr, 0
	.set _Z30fast_hadamard_transform_kernelI37fast_hadamard_transform_kernel_traitsILi8ELi6E6__halfEEv18HadamardParamsBase.numbered_sgpr, 11
	.set _Z30fast_hadamard_transform_kernelI37fast_hadamard_transform_kernel_traitsILi8ELi6E6__halfEEv18HadamardParamsBase.num_named_barrier, 0
	.set _Z30fast_hadamard_transform_kernelI37fast_hadamard_transform_kernel_traitsILi8ELi6E6__halfEEv18HadamardParamsBase.private_seg_size, 0
	.set _Z30fast_hadamard_transform_kernelI37fast_hadamard_transform_kernel_traitsILi8ELi6E6__halfEEv18HadamardParamsBase.uses_vcc, 1
	.set _Z30fast_hadamard_transform_kernelI37fast_hadamard_transform_kernel_traitsILi8ELi6E6__halfEEv18HadamardParamsBase.uses_flat_scratch, 0
	.set _Z30fast_hadamard_transform_kernelI37fast_hadamard_transform_kernel_traitsILi8ELi6E6__halfEEv18HadamardParamsBase.has_dyn_sized_stack, 0
	.set _Z30fast_hadamard_transform_kernelI37fast_hadamard_transform_kernel_traitsILi8ELi6E6__halfEEv18HadamardParamsBase.has_recursion, 0
	.set _Z30fast_hadamard_transform_kernelI37fast_hadamard_transform_kernel_traitsILi8ELi6E6__halfEEv18HadamardParamsBase.has_indirect_call, 0
	.section	.AMDGPU.csdata,"",@progbits
; Kernel info:
; codeLenInByte = 1136
; TotalNumSgprs: 13
; NumVgprs: 22
; ScratchSize: 0
; MemoryBound: 0
; FloatMode: 240
; IeeeMode: 1
; LDSByteSize: 0 bytes/workgroup (compile time only)
; SGPRBlocks: 0
; VGPRBlocks: 1
; NumSGPRsForWavesPerEU: 13
; NumVGPRsForWavesPerEU: 22
; NamedBarCnt: 0
; Occupancy: 16
; WaveLimiterHint : 0
; COMPUTE_PGM_RSRC2:SCRATCH_EN: 0
; COMPUTE_PGM_RSRC2:USER_SGPR: 2
; COMPUTE_PGM_RSRC2:TRAP_HANDLER: 0
; COMPUTE_PGM_RSRC2:TGID_X_EN: 1
; COMPUTE_PGM_RSRC2:TGID_Y_EN: 0
; COMPUTE_PGM_RSRC2:TGID_Z_EN: 0
; COMPUTE_PGM_RSRC2:TIDIG_COMP_CNT: 0
	.section	.text._Z30fast_hadamard_transform_kernelI37fast_hadamard_transform_kernel_traitsILi16ELi7E6__halfEEv18HadamardParamsBase,"axG",@progbits,_Z30fast_hadamard_transform_kernelI37fast_hadamard_transform_kernel_traitsILi16ELi7E6__halfEEv18HadamardParamsBase,comdat
	.protected	_Z30fast_hadamard_transform_kernelI37fast_hadamard_transform_kernel_traitsILi16ELi7E6__halfEEv18HadamardParamsBase ; -- Begin function _Z30fast_hadamard_transform_kernelI37fast_hadamard_transform_kernel_traitsILi16ELi7E6__halfEEv18HadamardParamsBase
	.globl	_Z30fast_hadamard_transform_kernelI37fast_hadamard_transform_kernel_traitsILi16ELi7E6__halfEEv18HadamardParamsBase
	.p2align	8
	.type	_Z30fast_hadamard_transform_kernelI37fast_hadamard_transform_kernel_traitsILi16ELi7E6__halfEEv18HadamardParamsBase,@function
_Z30fast_hadamard_transform_kernelI37fast_hadamard_transform_kernel_traitsILi16ELi7E6__halfEEv18HadamardParamsBase: ; @_Z30fast_hadamard_transform_kernelI37fast_hadamard_transform_kernel_traitsILi16ELi7E6__halfEEv18HadamardParamsBase
; %bb.0:
	s_load_b32 s2, s[0:1], 0x4
	s_bfe_u32 s4, ttmp6, 0x4000c
	v_dual_mov_b32 v2, 0 :: v_dual_lshlrev_b32 v1, 3, v0
	s_add_co_i32 s4, s4, 1
	s_and_b32 s3, ttmp6, 15
	s_mul_i32 s4, ttmp9, s4
	s_getreg_b32 s5, hwreg(HW_REG_IB_STS2, 6, 4)
	s_add_co_i32 s3, s3, s4
	s_cmp_eq_u32 s5, 0
	v_dual_mov_b32 v3, v2 :: v_dual_mov_b32 v4, v2
	v_dual_mov_b32 v5, v2 :: v_dual_mov_b32 v6, v2
	;; [unrolled: 1-line block ×3, first 2 shown]
	v_mov_b32_e32 v9, v2
	s_cselect_b32 s4, ttmp9, s3
	s_delay_alu instid0(SALU_CYCLE_1)
	s_ashr_i32 s5, s4, 31
	s_wait_kmcnt 0x0
	v_cmp_gt_u32_e32 vcc_lo, s2, v1
	s_and_saveexec_b32 s2, vcc_lo
	s_cbranch_execz .LBB17_2
; %bb.1:
	s_clause 0x1
	s_load_b64 s[6:7], s[0:1], 0x10
	s_load_b64 s[8:9], s[0:1], 0x28
	s_wait_kmcnt 0x0
	s_mul_u64 s[6:7], s[6:7], s[4:5]
	s_delay_alu instid0(SALU_CYCLE_1) | instskip(NEXT) | instid1(SALU_CYCLE_1)
	s_lshl_b64 s[6:7], s[6:7], 1
	s_add_nc_u64 s[6:7], s[8:9], s[6:7]
	global_load_b128 v[10:13], v0, s[6:7] scale_offset
	s_wait_loadcnt 0x0
	v_cvt_f32_f16_e32 v8, v10
	v_dual_lshrrev_b32 v1, 16, v10 :: v_dual_lshrrev_b32 v3, 16, v11
	v_dual_lshrrev_b32 v5, 16, v12 :: v_dual_lshrrev_b32 v10, 16, v13
	v_cvt_f32_f16_e32 v6, v11
	v_cvt_f32_f16_e32 v4, v12
	v_cvt_f32_f16_e32 v2, v13
	v_cvt_f32_f16_e32 v9, v1
	v_cvt_f32_f16_e32 v7, v3
	v_cvt_f32_f16_e32 v5, v5
	v_cvt_f32_f16_e32 v3, v10
.LBB17_2:
	s_or_b32 exec_lo, exec_lo, s2
	v_mbcnt_lo_u32_b32 v1, -1, 0
	v_pk_add_f32 v[10:11], v[8:9], v[8:9] op_sel_hi:[0,1] neg_lo:[0,1] neg_hi:[0,1]
	v_add_f32_e32 v10, v8, v9
	v_pk_add_f32 v[8:9], v[6:7], v[6:7] op_sel_hi:[0,1] neg_lo:[0,1] neg_hi:[0,1]
	v_add_f32_e32 v8, v6, v7
	;; [unrolled: 2-line block ×3, first 2 shown]
	v_xor_b32_e32 v4, 1, v1
	v_pk_add_f32 v[12:13], v[2:3], v[2:3] op_sel_hi:[0,1] neg_lo:[0,1] neg_hi:[0,1]
	v_add_f32_e32 v12, v2, v3
	v_pk_add_f32 v[2:3], v[8:9], v[10:11]
	v_pk_add_f32 v[8:9], v[10:11], v[8:9] neg_lo:[0,1] neg_hi:[0,1]
	v_cmp_gt_i32_e64 s2, 32, v4
	s_delay_alu instid0(VALU_DEP_1) | instskip(SKIP_3) | instid1(VALU_DEP_4)
	v_dual_cndmask_b32 v14, v1, v4, s2 :: v_dual_bitop2_b32 v18, 2, v1 bitop3:0x14
	v_pk_add_f32 v[4:5], v[12:13], v[6:7]
	v_and_b32_e32 v16, 1, v0
	v_pk_add_f32 v[6:7], v[6:7], v[12:13] neg_lo:[0,1] neg_hi:[0,1]
	v_cmp_gt_i32_e64 s3, 32, v18
	v_lshlrev_b32_e32 v17, 2, v14
	v_pk_add_f32 v[14:15], v[4:5], v[2:3]
	v_dual_sub_f32 v12, v3, v5 :: v_dual_sub_f32 v19, v2, v4
	v_sub_f32_e32 v20, v8, v6
	v_pk_add_f32 v[4:5], v[6:7], v[8:9]
	ds_bpermute_b32 v2, v17, v14
	ds_bpermute_b32 v3, v17, v15
	v_cmp_eq_u32_e64 s2, 0, v16
	v_sub_f32_e32 v21, v9, v7
	ds_bpermute_b32 v10, v17, v19
	ds_bpermute_b32 v11, v17, v12
	;; [unrolled: 1-line block ×5, first 2 shown]
	v_cndmask_b32_e64 v13, -v12, v12, s2
	ds_bpermute_b32 v9, v17, v21
	v_dual_cndmask_b32 v16, v1, v18, s3 :: v_dual_cndmask_b32 v15, -v15, v15, s2
	v_dual_cndmask_b32 v14, -v14, v14, s2 :: v_dual_bitop2_b32 v18, 2, v0 bitop3:0x40
	s_delay_alu instid0(VALU_DEP_2)
	v_dual_cndmask_b32 v12, -v19, v19, s2 :: v_dual_lshlrev_b32 v22, 2, v16
	v_dual_cndmask_b32 v17, -v21, v21, s2 :: v_dual_cndmask_b32 v4, -v4, v4, s2
	v_dual_cndmask_b32 v5, -v5, v5, s2 :: v_dual_cndmask_b32 v16, -v20, v20, s2
	s_wait_dscnt 0x6
	v_pk_add_f32 v[2:3], v[14:15], v[2:3]
	v_cmp_eq_u32_e64 s2, 0, v18
	v_and_b32_e32 v19, 4, v0
	s_wait_dscnt 0x4
	v_pk_add_f32 v[10:11], v[12:13], v[10:11]
	ds_bpermute_b32 v12, v22, v2
	ds_bpermute_b32 v13, v22, v3
	s_wait_dscnt 0x4
	v_pk_add_f32 v[4:5], v[4:5], v[6:7]
	v_xor_b32_e32 v18, 4, v1
	s_wait_dscnt 0x2
	v_pk_add_f32 v[6:7], v[16:17], v[8:9]
	ds_bpermute_b32 v8, v22, v10
	ds_bpermute_b32 v9, v22, v11
	;; [unrolled: 1-line block ×6, first 2 shown]
	v_cndmask_b32_e64 v11, -v11, v11, s2
	v_cmp_gt_i32_e64 s3, 32, v18
	v_dual_cndmask_b32 v3, -v3, v3, s2 :: v_dual_cndmask_b32 v2, -v2, v2, s2
	v_dual_cndmask_b32 v10, -v10, v10, s2 :: v_dual_cndmask_b32 v4, -v4, v4, s2
	s_delay_alu instid0(VALU_DEP_3)
	v_cndmask_b32_e64 v18, v1, v18, s3
	v_dual_cndmask_b32 v5, -v5, v5, s2 :: v_dual_cndmask_b32 v7, -v7, v7, s2
	v_cndmask_b32_e64 v6, -v6, v6, s2
	s_wait_dscnt 0x6
	v_pk_add_f32 v[2:3], v[2:3], v[12:13]
	v_lshlrev_b32_e32 v22, 2, v18
	v_cmp_eq_u32_e64 s2, 0, v19
	s_wait_dscnt 0x4
	v_pk_add_f32 v[8:9], v[10:11], v[8:9]
	ds_bpermute_b32 v12, v22, v2
	ds_bpermute_b32 v13, v22, v3
	s_wait_dscnt 0x4
	v_pk_add_f32 v[4:5], v[4:5], v[14:15]
	s_wait_dscnt 0x2
	v_pk_add_f32 v[6:7], v[6:7], v[16:17]
	ds_bpermute_b32 v18, v22, v8
	ds_bpermute_b32 v19, v22, v9
	v_xor_b32_e32 v16, 8, v1
	ds_bpermute_b32 v10, v22, v4
	ds_bpermute_b32 v11, v22, v5
	;; [unrolled: 1-line block ×4, first 2 shown]
	v_dual_cndmask_b32 v3, -v3, v3, s2 :: v_dual_cndmask_b32 v2, -v2, v2, s2
	v_cndmask_b32_e64 v4, -v4, v4, s2
	v_cmp_gt_i32_e64 s3, 32, v16
	v_dual_cndmask_b32 v5, -v5, v5, s2 :: v_dual_cndmask_b32 v7, -v7, v7, s2
	s_delay_alu instid0(VALU_DEP_2) | instskip(SKIP_3) | instid1(VALU_DEP_3)
	v_dual_cndmask_b32 v6, -v6, v6, s2 :: v_dual_cndmask_b32 v1, v1, v16, s3
	s_wait_dscnt 0x6
	v_pk_add_f32 v[14:15], v[2:3], v[12:13]
	v_dual_cndmask_b32 v3, -v9, v9, s2 :: v_dual_cndmask_b32 v2, -v8, v8, s2
	v_lshlrev_b32_e32 v1, 2, v1
	s_wait_dscnt 0x2
	v_pk_add_f32 v[16:17], v[4:5], v[10:11]
	s_delay_alu instid0(VALU_DEP_3)
	v_pk_add_f32 v[8:9], v[2:3], v[18:19]
	s_wait_dscnt 0x0
	v_pk_add_f32 v[6:7], v[6:7], v[20:21]
	ds_bpermute_b32 v4, v1, v14
	ds_bpermute_b32 v5, v1, v15
	;; [unrolled: 1-line block ×8, first 2 shown]
	s_and_saveexec_b32 s2, vcc_lo
	s_cbranch_execz .LBB17_4
; %bb.3:
	s_load_b96 s[8:10], s[0:1], 0x18
	v_and_b32_e32 v1, 8, v0
	s_wait_xcnt 0x0
	s_load_b64 s[0:1], s[0:1], 0x30
	s_delay_alu instid0(VALU_DEP_1)
	v_cmp_eq_u32_e32 vcc_lo, 0, v1
	v_dual_cndmask_b32 v15, -v15, v15, vcc_lo :: v_dual_cndmask_b32 v14, -v14, v14, vcc_lo
	v_dual_cndmask_b32 v17, -v17, v17, vcc_lo :: v_dual_cndmask_b32 v16, -v16, v16, vcc_lo
	;; [unrolled: 1-line block ×4, first 2 shown]
	s_wait_dscnt 0x4
	s_delay_alu instid0(VALU_DEP_3)
	v_pk_add_f32 v[12:13], v[16:17], v[12:13]
	v_pk_add_f32 v[4:5], v[14:15], v[4:5]
	s_wait_kmcnt 0x0
	s_mov_b32 s2, s10
	s_wait_dscnt 0x0
	v_pk_add_f32 v[6:7], v[6:7], v[10:11]
	v_pk_add_f32 v[2:3], v[8:9], v[2:3]
	v_pk_mul_f32 v[8:9], s[2:3], v[12:13] op_sel_hi:[0,1]
	v_pk_mul_f32 v[4:5], s[2:3], v[4:5] op_sel_hi:[0,1]
	s_delay_alu instid0(VALU_DEP_4) | instskip(NEXT) | instid1(VALU_DEP_4)
	v_pk_mul_f32 v[6:7], s[2:3], v[6:7] op_sel_hi:[0,1]
	v_pk_mul_f32 v[10:11], s[2:3], v[2:3] op_sel_hi:[0,1]
	s_mul_u64 s[2:3], s[8:9], s[4:5]
	v_cvt_pk_f16_f32 v3, v8, v9
	v_cvt_pk_f16_f32 v2, v4, v5
	v_cvt_pk_f16_f32 v5, v6, v7
	v_cvt_pk_f16_f32 v4, v10, v11
	s_lshl_b64 s[2:3], s[2:3], 1
	s_delay_alu instid0(SALU_CYCLE_1)
	s_add_nc_u64 s[0:1], s[0:1], s[2:3]
	global_store_b128 v0, v[2:5], s[0:1] scale_offset
.LBB17_4:
	s_endpgm
	.section	.rodata,"a",@progbits
	.p2align	6, 0x0
	.amdhsa_kernel _Z30fast_hadamard_transform_kernelI37fast_hadamard_transform_kernel_traitsILi16ELi7E6__halfEEv18HadamardParamsBase
		.amdhsa_group_segment_fixed_size 0
		.amdhsa_private_segment_fixed_size 0
		.amdhsa_kernarg_size 56
		.amdhsa_user_sgpr_count 2
		.amdhsa_user_sgpr_dispatch_ptr 0
		.amdhsa_user_sgpr_queue_ptr 0
		.amdhsa_user_sgpr_kernarg_segment_ptr 1
		.amdhsa_user_sgpr_dispatch_id 0
		.amdhsa_user_sgpr_kernarg_preload_length 0
		.amdhsa_user_sgpr_kernarg_preload_offset 0
		.amdhsa_user_sgpr_private_segment_size 0
		.amdhsa_wavefront_size32 1
		.amdhsa_uses_dynamic_stack 0
		.amdhsa_enable_private_segment 0
		.amdhsa_system_sgpr_workgroup_id_x 1
		.amdhsa_system_sgpr_workgroup_id_y 0
		.amdhsa_system_sgpr_workgroup_id_z 0
		.amdhsa_system_sgpr_workgroup_info 0
		.amdhsa_system_vgpr_workitem_id 0
		.amdhsa_next_free_vgpr 23
		.amdhsa_next_free_sgpr 11
		.amdhsa_named_barrier_count 0
		.amdhsa_reserve_vcc 1
		.amdhsa_float_round_mode_32 0
		.amdhsa_float_round_mode_16_64 0
		.amdhsa_float_denorm_mode_32 3
		.amdhsa_float_denorm_mode_16_64 3
		.amdhsa_fp16_overflow 0
		.amdhsa_memory_ordered 1
		.amdhsa_forward_progress 1
		.amdhsa_inst_pref_size 10
		.amdhsa_round_robin_scheduling 0
		.amdhsa_exception_fp_ieee_invalid_op 0
		.amdhsa_exception_fp_denorm_src 0
		.amdhsa_exception_fp_ieee_div_zero 0
		.amdhsa_exception_fp_ieee_overflow 0
		.amdhsa_exception_fp_ieee_underflow 0
		.amdhsa_exception_fp_ieee_inexact 0
		.amdhsa_exception_int_div_zero 0
	.end_amdhsa_kernel
	.section	.text._Z30fast_hadamard_transform_kernelI37fast_hadamard_transform_kernel_traitsILi16ELi7E6__halfEEv18HadamardParamsBase,"axG",@progbits,_Z30fast_hadamard_transform_kernelI37fast_hadamard_transform_kernel_traitsILi16ELi7E6__halfEEv18HadamardParamsBase,comdat
.Lfunc_end17:
	.size	_Z30fast_hadamard_transform_kernelI37fast_hadamard_transform_kernel_traitsILi16ELi7E6__halfEEv18HadamardParamsBase, .Lfunc_end17-_Z30fast_hadamard_transform_kernelI37fast_hadamard_transform_kernel_traitsILi16ELi7E6__halfEEv18HadamardParamsBase
                                        ; -- End function
	.set _Z30fast_hadamard_transform_kernelI37fast_hadamard_transform_kernel_traitsILi16ELi7E6__halfEEv18HadamardParamsBase.num_vgpr, 23
	.set _Z30fast_hadamard_transform_kernelI37fast_hadamard_transform_kernel_traitsILi16ELi7E6__halfEEv18HadamardParamsBase.num_agpr, 0
	.set _Z30fast_hadamard_transform_kernelI37fast_hadamard_transform_kernel_traitsILi16ELi7E6__halfEEv18HadamardParamsBase.numbered_sgpr, 11
	.set _Z30fast_hadamard_transform_kernelI37fast_hadamard_transform_kernel_traitsILi16ELi7E6__halfEEv18HadamardParamsBase.num_named_barrier, 0
	.set _Z30fast_hadamard_transform_kernelI37fast_hadamard_transform_kernel_traitsILi16ELi7E6__halfEEv18HadamardParamsBase.private_seg_size, 0
	.set _Z30fast_hadamard_transform_kernelI37fast_hadamard_transform_kernel_traitsILi16ELi7E6__halfEEv18HadamardParamsBase.uses_vcc, 1
	.set _Z30fast_hadamard_transform_kernelI37fast_hadamard_transform_kernel_traitsILi16ELi7E6__halfEEv18HadamardParamsBase.uses_flat_scratch, 0
	.set _Z30fast_hadamard_transform_kernelI37fast_hadamard_transform_kernel_traitsILi16ELi7E6__halfEEv18HadamardParamsBase.has_dyn_sized_stack, 0
	.set _Z30fast_hadamard_transform_kernelI37fast_hadamard_transform_kernel_traitsILi16ELi7E6__halfEEv18HadamardParamsBase.has_recursion, 0
	.set _Z30fast_hadamard_transform_kernelI37fast_hadamard_transform_kernel_traitsILi16ELi7E6__halfEEv18HadamardParamsBase.has_indirect_call, 0
	.section	.AMDGPU.csdata,"",@progbits
; Kernel info:
; codeLenInByte = 1280
; TotalNumSgprs: 13
; NumVgprs: 23
; ScratchSize: 0
; MemoryBound: 0
; FloatMode: 240
; IeeeMode: 1
; LDSByteSize: 0 bytes/workgroup (compile time only)
; SGPRBlocks: 0
; VGPRBlocks: 1
; NumSGPRsForWavesPerEU: 13
; NumVGPRsForWavesPerEU: 23
; NamedBarCnt: 0
; Occupancy: 16
; WaveLimiterHint : 0
; COMPUTE_PGM_RSRC2:SCRATCH_EN: 0
; COMPUTE_PGM_RSRC2:USER_SGPR: 2
; COMPUTE_PGM_RSRC2:TRAP_HANDLER: 0
; COMPUTE_PGM_RSRC2:TGID_X_EN: 1
; COMPUTE_PGM_RSRC2:TGID_Y_EN: 0
; COMPUTE_PGM_RSRC2:TGID_Z_EN: 0
; COMPUTE_PGM_RSRC2:TIDIG_COMP_CNT: 0
	.section	.text._Z30fast_hadamard_transform_kernelI37fast_hadamard_transform_kernel_traitsILi32ELi8E6__halfEEv18HadamardParamsBase,"axG",@progbits,_Z30fast_hadamard_transform_kernelI37fast_hadamard_transform_kernel_traitsILi32ELi8E6__halfEEv18HadamardParamsBase,comdat
	.protected	_Z30fast_hadamard_transform_kernelI37fast_hadamard_transform_kernel_traitsILi32ELi8E6__halfEEv18HadamardParamsBase ; -- Begin function _Z30fast_hadamard_transform_kernelI37fast_hadamard_transform_kernel_traitsILi32ELi8E6__halfEEv18HadamardParamsBase
	.globl	_Z30fast_hadamard_transform_kernelI37fast_hadamard_transform_kernel_traitsILi32ELi8E6__halfEEv18HadamardParamsBase
	.p2align	8
	.type	_Z30fast_hadamard_transform_kernelI37fast_hadamard_transform_kernel_traitsILi32ELi8E6__halfEEv18HadamardParamsBase,@function
_Z30fast_hadamard_transform_kernelI37fast_hadamard_transform_kernel_traitsILi32ELi8E6__halfEEv18HadamardParamsBase: ; @_Z30fast_hadamard_transform_kernelI37fast_hadamard_transform_kernel_traitsILi32ELi8E6__halfEEv18HadamardParamsBase
; %bb.0:
	s_load_b32 s2, s[0:1], 0x4
	s_bfe_u32 s4, ttmp6, 0x4000c
	v_dual_mov_b32 v3, 0 :: v_dual_mov_b32 v7, 0
	s_add_co_i32 s4, s4, 1
	v_lshlrev_b32_e32 v1, 3, v0
	s_and_b32 s3, ttmp6, 15
	s_mul_i32 s4, ttmp9, s4
	s_getreg_b32 s5, hwreg(HW_REG_IB_STS2, 6, 4)
	s_add_co_i32 s3, s3, s4
	s_cmp_eq_u32 s5, 0
	v_dual_mov_b32 v5, 0 :: v_dual_mov_b32 v9, 0
	v_dual_mov_b32 v2, v3 :: v_dual_mov_b32 v6, v3
	;; [unrolled: 1-line block ×3, first 2 shown]
	s_cselect_b32 s4, ttmp9, s3
	s_delay_alu instid0(SALU_CYCLE_1)
	s_ashr_i32 s5, s4, 31
	s_wait_kmcnt 0x0
	v_cmp_gt_u32_e32 vcc_lo, s2, v1
	s_and_saveexec_b32 s2, vcc_lo
	s_cbranch_execz .LBB18_2
; %bb.1:
	s_clause 0x1
	s_load_b64 s[6:7], s[0:1], 0x10
	s_load_b64 s[8:9], s[0:1], 0x28
	s_wait_kmcnt 0x0
	s_mul_u64 s[6:7], s[6:7], s[4:5]
	s_delay_alu instid0(SALU_CYCLE_1) | instskip(NEXT) | instid1(SALU_CYCLE_1)
	s_lshl_b64 s[6:7], s[6:7], 1
	s_add_nc_u64 s[6:7], s[8:9], s[6:7]
	global_load_b128 v[6:9], v0, s[6:7] scale_offset
	s_wait_loadcnt 0x0
	v_cvt_f32_f16_e32 v4, v6
	v_dual_lshrrev_b32 v1, 16, v6 :: v_dual_lshrrev_b32 v6, 16, v7
	v_cvt_f32_f16_e32 v2, v7
	v_dual_lshrrev_b32 v7, 16, v8 :: v_dual_lshrrev_b32 v10, 16, v9
	v_cvt_f32_f16_e32 v5, v8
	v_cvt_f32_f16_e32 v3, v9
	;; [unrolled: 1-line block ×6, first 2 shown]
.LBB18_2:
	s_or_b32 exec_lo, exec_lo, s2
	v_mbcnt_lo_u32_b32 v1, -1, 0
	s_delay_alu instid0(VALU_DEP_3) | instskip(NEXT) | instid1(VALU_DEP_3)
	v_pk_add_f32 v[10:11], v[8:9], v[4:5]
	v_pk_add_f32 v[12:13], v[6:7], v[2:3]
	v_pk_add_f32 v[2:3], v[2:3], v[6:7] neg_lo:[0,1] neg_hi:[0,1]
	v_pk_add_f32 v[4:5], v[4:5], v[8:9] neg_lo:[0,1] neg_hi:[0,1]
	s_delay_alu instid0(VALU_DEP_3) | instskip(SKIP_2) | instid1(VALU_DEP_4)
	v_pk_add_f32 v[6:7], v[12:13], v[10:11]
	v_xor_b32_e32 v14, 1, v1
	v_pk_add_f32 v[10:11], v[10:11], v[12:13] neg_lo:[0,1] neg_hi:[0,1]
	v_pk_add_f32 v[8:9], v[2:3], v[4:5]
	v_pk_add_f32 v[2:3], v[4:5], v[2:3] neg_lo:[0,1] neg_hi:[0,1]
	v_add_f32_e32 v12, v7, v6
	v_cmp_gt_i32_e64 s2, 32, v14
	v_and_b32_e32 v15, 1, v0
	v_dual_sub_f32 v17, v6, v7 :: v_dual_bitop2_b32 v16, 2, v1 bitop3:0x14
	v_dual_sub_f32 v18, v8, v9 :: v_dual_add_f32 v19, v11, v10
	s_delay_alu instid0(VALU_DEP_4) | instskip(SKIP_1) | instid1(VALU_DEP_4)
	v_cndmask_b32_e64 v14, v1, v14, s2
	v_dual_add_f32 v20, v3, v2 :: v_dual_sub_f32 v21, v10, v11
	v_cmp_gt_i32_e64 s3, 32, v16
	s_delay_alu instid0(VALU_DEP_3) | instskip(SKIP_2) | instid1(VALU_DEP_4)
	v_dual_sub_f32 v22, v2, v3 :: v_dual_lshlrev_b32 v13, 2, v14
	v_add_f32_e32 v14, v9, v8
	v_cmp_eq_u32_e64 s2, 0, v15
	v_dual_cndmask_b32 v15, v1, v16, s3 :: v_dual_bitop2_b32 v23, 4, v1 bitop3:0x14
	ds_bpermute_b32 v4, v13, v12
	ds_bpermute_b32 v5, v13, v14
	;; [unrolled: 1-line block ×8, first 2 shown]
	v_dual_cndmask_b32 v10, -v12, v12, s2 :: v_dual_cndmask_b32 v11, -v14, v14, s2
	v_dual_cndmask_b32 v12, -v19, v19, s2 :: v_dual_bitop2_b32 v14, 2, v0 bitop3:0x40
	v_dual_lshlrev_b32 v19, 2, v15 :: v_dual_cndmask_b32 v13, -v20, v20, s2
	v_cndmask_b32_e64 v16, -v21, v21, s2
	s_delay_alu instid0(VALU_DEP_3)
	v_cmp_eq_u32_e64 s3, 0, v14
	s_wait_dscnt 0x6
	v_pk_add_f32 v[4:5], v[10:11], v[4:5]
	v_dual_cndmask_b32 v10, -v17, v17, s2 :: v_dual_cndmask_b32 v11, -v18, v18, s2
	v_cndmask_b32_e64 v17, -v22, v22, s2
	v_cmp_gt_i32_e64 s2, 32, v23
	ds_bpermute_b32 v14, v19, v4
	ds_bpermute_b32 v15, v19, v5
	s_wait_dscnt 0x6
	v_pk_add_f32 v[2:3], v[12:13], v[2:3]
	s_wait_dscnt 0x4
	v_pk_add_f32 v[6:7], v[10:11], v[6:7]
	v_cndmask_b32_e64 v18, v1, v23, s2
	s_wait_dscnt 0x2
	v_pk_add_f32 v[8:9], v[16:17], v[8:9]
	v_dual_cndmask_b32 v5, -v5, v5, s3 :: v_dual_cndmask_b32 v4, -v4, v4, s3
	ds_bpermute_b32 v10, v19, v2
	ds_bpermute_b32 v11, v19, v3
	;; [unrolled: 1-line block ×6, first 2 shown]
	v_dual_lshlrev_b32 v18, 2, v18 :: v_dual_bitop2_b32 v19, 4, v0 bitop3:0x40
	v_dual_cndmask_b32 v3, -v3, v3, s3 :: v_dual_cndmask_b32 v2, -v2, v2, s3
	v_dual_cndmask_b32 v7, -v7, v7, s3 :: v_dual_cndmask_b32 v6, -v6, v6, s3
	;; [unrolled: 1-line block ×3, first 2 shown]
	s_wait_dscnt 0x6
	v_pk_add_f32 v[4:5], v[4:5], v[14:15]
	v_cmp_eq_u32_e64 s2, 0, v19
	v_xor_b32_e32 v19, 8, v1
	ds_bpermute_b32 v14, v18, v4
	ds_bpermute_b32 v15, v18, v5
	s_wait_dscnt 0x6
	v_pk_add_f32 v[2:3], v[2:3], v[10:11]
	v_cndmask_b32_e64 v4, -v4, v4, s2
	s_wait_dscnt 0x4
	v_pk_add_f32 v[6:7], v[6:7], v[12:13]
	v_cmp_gt_i32_e64 s3, 32, v19
	s_wait_dscnt 0x2
	v_pk_add_f32 v[8:9], v[8:9], v[16:17]
	ds_bpermute_b32 v10, v18, v2
	ds_bpermute_b32 v11, v18, v3
	;; [unrolled: 1-line block ×6, first 2 shown]
	v_dual_cndmask_b32 v18, v1, v19, s3 :: v_dual_bitop2_b32 v19, 8, v0 bitop3:0x40
	v_dual_cndmask_b32 v5, -v5, v5, s2 :: v_dual_cndmask_b32 v3, -v3, v3, s2
	v_cndmask_b32_e64 v2, -v2, v2, s2
	s_delay_alu instid0(VALU_DEP_3)
	v_dual_lshlrev_b32 v20, 2, v18 :: v_dual_cndmask_b32 v7, -v7, v7, s2
	v_cndmask_b32_e64 v6, -v6, v6, s2
	s_wait_dscnt 0x6
	v_pk_add_f32 v[4:5], v[4:5], v[14:15]
	v_dual_cndmask_b32 v9, -v9, v9, s2 :: v_dual_cndmask_b32 v8, -v8, v8, s2
	v_cmp_eq_u32_e64 s2, 0, v19
	ds_bpermute_b32 v14, v20, v4
	ds_bpermute_b32 v15, v20, v5
	s_wait_dscnt 0x6
	v_pk_add_f32 v[2:3], v[2:3], v[10:11]
	v_dual_cndmask_b32 v5, -v5, v5, s2 :: v_dual_cndmask_b32 v4, -v4, v4, s2
	s_wait_dscnt 0x4
	v_pk_add_f32 v[6:7], v[6:7], v[12:13]
	s_wait_dscnt 0x2
	v_pk_add_f32 v[8:9], v[8:9], v[16:17]
	ds_bpermute_b32 v10, v20, v2
	ds_bpermute_b32 v11, v20, v3
	v_dual_cndmask_b32 v3, -v3, v3, s2 :: v_dual_bitop2_b32 v16, 16, v1 bitop3:0x14
	ds_bpermute_b32 v12, v20, v6
	ds_bpermute_b32 v18, v20, v8
	;; [unrolled: 1-line block ×4, first 2 shown]
	v_cmp_gt_i32_e64 s3, 32, v16
	v_dual_cndmask_b32 v2, -v2, v2, s2 :: v_dual_cndmask_b32 v9, -v9, v9, s2
	v_cndmask_b32_e64 v8, -v8, v8, s2
	s_delay_alu instid0(VALU_DEP_3) | instskip(SKIP_3) | instid1(VALU_DEP_3)
	v_cndmask_b32_e64 v1, v1, v16, s3
	s_wait_dscnt 0x6
	v_pk_add_f32 v[14:15], v[4:5], v[14:15]
	v_dual_cndmask_b32 v5, -v7, v7, s2 :: v_dual_cndmask_b32 v4, -v6, v6, s2
	v_lshlrev_b32_e32 v1, 2, v1
	s_wait_dscnt 0x4
	v_pk_add_f32 v[16:17], v[2:3], v[10:11]
	s_wait_dscnt 0x1
	v_pk_add_f32 v[6:7], v[8:9], v[18:19]
	s_wait_dscnt 0x0
	v_pk_add_f32 v[8:9], v[4:5], v[12:13]
	ds_bpermute_b32 v4, v1, v14
	ds_bpermute_b32 v5, v1, v15
	;; [unrolled: 1-line block ×8, first 2 shown]
	s_and_saveexec_b32 s2, vcc_lo
	s_cbranch_execz .LBB18_4
; %bb.3:
	s_load_b96 s[8:10], s[0:1], 0x18
	v_and_b32_e32 v1, 16, v0
	s_wait_xcnt 0x0
	s_load_b64 s[0:1], s[0:1], 0x30
	s_delay_alu instid0(VALU_DEP_1)
	v_cmp_eq_u32_e32 vcc_lo, 0, v1
	v_dual_cndmask_b32 v15, -v15, v15, vcc_lo :: v_dual_cndmask_b32 v14, -v14, v14, vcc_lo
	v_dual_cndmask_b32 v17, -v17, v17, vcc_lo :: v_dual_cndmask_b32 v16, -v16, v16, vcc_lo
	;; [unrolled: 1-line block ×4, first 2 shown]
	s_wait_dscnt 0x4
	s_delay_alu instid0(VALU_DEP_3)
	v_pk_add_f32 v[12:13], v[16:17], v[12:13]
	v_pk_add_f32 v[4:5], v[14:15], v[4:5]
	s_wait_kmcnt 0x0
	s_mov_b32 s2, s10
	s_wait_dscnt 0x0
	v_pk_add_f32 v[6:7], v[6:7], v[10:11]
	v_pk_add_f32 v[2:3], v[8:9], v[2:3]
	v_pk_mul_f32 v[8:9], s[2:3], v[12:13] op_sel_hi:[0,1]
	v_pk_mul_f32 v[4:5], s[2:3], v[4:5] op_sel_hi:[0,1]
	s_delay_alu instid0(VALU_DEP_4) | instskip(NEXT) | instid1(VALU_DEP_4)
	v_pk_mul_f32 v[6:7], s[2:3], v[6:7] op_sel_hi:[0,1]
	v_pk_mul_f32 v[10:11], s[2:3], v[2:3] op_sel_hi:[0,1]
	s_mul_u64 s[2:3], s[8:9], s[4:5]
	v_cvt_pk_f16_f32 v3, v8, v9
	v_cvt_pk_f16_f32 v2, v4, v5
	;; [unrolled: 1-line block ×4, first 2 shown]
	s_lshl_b64 s[2:3], s[2:3], 1
	s_delay_alu instid0(SALU_CYCLE_1)
	s_add_nc_u64 s[0:1], s[0:1], s[2:3]
	global_store_b128 v0, v[2:5], s[0:1] scale_offset
.LBB18_4:
	s_endpgm
	.section	.rodata,"a",@progbits
	.p2align	6, 0x0
	.amdhsa_kernel _Z30fast_hadamard_transform_kernelI37fast_hadamard_transform_kernel_traitsILi32ELi8E6__halfEEv18HadamardParamsBase
		.amdhsa_group_segment_fixed_size 0
		.amdhsa_private_segment_fixed_size 0
		.amdhsa_kernarg_size 56
		.amdhsa_user_sgpr_count 2
		.amdhsa_user_sgpr_dispatch_ptr 0
		.amdhsa_user_sgpr_queue_ptr 0
		.amdhsa_user_sgpr_kernarg_segment_ptr 1
		.amdhsa_user_sgpr_dispatch_id 0
		.amdhsa_user_sgpr_kernarg_preload_length 0
		.amdhsa_user_sgpr_kernarg_preload_offset 0
		.amdhsa_user_sgpr_private_segment_size 0
		.amdhsa_wavefront_size32 1
		.amdhsa_uses_dynamic_stack 0
		.amdhsa_enable_private_segment 0
		.amdhsa_system_sgpr_workgroup_id_x 1
		.amdhsa_system_sgpr_workgroup_id_y 0
		.amdhsa_system_sgpr_workgroup_id_z 0
		.amdhsa_system_sgpr_workgroup_info 0
		.amdhsa_system_vgpr_workitem_id 0
		.amdhsa_next_free_vgpr 24
		.amdhsa_next_free_sgpr 11
		.amdhsa_named_barrier_count 0
		.amdhsa_reserve_vcc 1
		.amdhsa_float_round_mode_32 0
		.amdhsa_float_round_mode_16_64 0
		.amdhsa_float_denorm_mode_32 3
		.amdhsa_float_denorm_mode_16_64 3
		.amdhsa_fp16_overflow 0
		.amdhsa_memory_ordered 1
		.amdhsa_forward_progress 1
		.amdhsa_inst_pref_size 12
		.amdhsa_round_robin_scheduling 0
		.amdhsa_exception_fp_ieee_invalid_op 0
		.amdhsa_exception_fp_denorm_src 0
		.amdhsa_exception_fp_ieee_div_zero 0
		.amdhsa_exception_fp_ieee_overflow 0
		.amdhsa_exception_fp_ieee_underflow 0
		.amdhsa_exception_fp_ieee_inexact 0
		.amdhsa_exception_int_div_zero 0
	.end_amdhsa_kernel
	.section	.text._Z30fast_hadamard_transform_kernelI37fast_hadamard_transform_kernel_traitsILi32ELi8E6__halfEEv18HadamardParamsBase,"axG",@progbits,_Z30fast_hadamard_transform_kernelI37fast_hadamard_transform_kernel_traitsILi32ELi8E6__halfEEv18HadamardParamsBase,comdat
.Lfunc_end18:
	.size	_Z30fast_hadamard_transform_kernelI37fast_hadamard_transform_kernel_traitsILi32ELi8E6__halfEEv18HadamardParamsBase, .Lfunc_end18-_Z30fast_hadamard_transform_kernelI37fast_hadamard_transform_kernel_traitsILi32ELi8E6__halfEEv18HadamardParamsBase
                                        ; -- End function
	.set _Z30fast_hadamard_transform_kernelI37fast_hadamard_transform_kernel_traitsILi32ELi8E6__halfEEv18HadamardParamsBase.num_vgpr, 24
	.set _Z30fast_hadamard_transform_kernelI37fast_hadamard_transform_kernel_traitsILi32ELi8E6__halfEEv18HadamardParamsBase.num_agpr, 0
	.set _Z30fast_hadamard_transform_kernelI37fast_hadamard_transform_kernel_traitsILi32ELi8E6__halfEEv18HadamardParamsBase.numbered_sgpr, 11
	.set _Z30fast_hadamard_transform_kernelI37fast_hadamard_transform_kernel_traitsILi32ELi8E6__halfEEv18HadamardParamsBase.num_named_barrier, 0
	.set _Z30fast_hadamard_transform_kernelI37fast_hadamard_transform_kernel_traitsILi32ELi8E6__halfEEv18HadamardParamsBase.private_seg_size, 0
	.set _Z30fast_hadamard_transform_kernelI37fast_hadamard_transform_kernel_traitsILi32ELi8E6__halfEEv18HadamardParamsBase.uses_vcc, 1
	.set _Z30fast_hadamard_transform_kernelI37fast_hadamard_transform_kernel_traitsILi32ELi8E6__halfEEv18HadamardParamsBase.uses_flat_scratch, 0
	.set _Z30fast_hadamard_transform_kernelI37fast_hadamard_transform_kernel_traitsILi32ELi8E6__halfEEv18HadamardParamsBase.has_dyn_sized_stack, 0
	.set _Z30fast_hadamard_transform_kernelI37fast_hadamard_transform_kernel_traitsILi32ELi8E6__halfEEv18HadamardParamsBase.has_recursion, 0
	.set _Z30fast_hadamard_transform_kernelI37fast_hadamard_transform_kernel_traitsILi32ELi8E6__halfEEv18HadamardParamsBase.has_indirect_call, 0
	.section	.AMDGPU.csdata,"",@progbits
; Kernel info:
; codeLenInByte = 1508
; TotalNumSgprs: 13
; NumVgprs: 24
; ScratchSize: 0
; MemoryBound: 0
; FloatMode: 240
; IeeeMode: 1
; LDSByteSize: 0 bytes/workgroup (compile time only)
; SGPRBlocks: 0
; VGPRBlocks: 1
; NumSGPRsForWavesPerEU: 13
; NumVGPRsForWavesPerEU: 24
; NamedBarCnt: 0
; Occupancy: 16
; WaveLimiterHint : 0
; COMPUTE_PGM_RSRC2:SCRATCH_EN: 0
; COMPUTE_PGM_RSRC2:USER_SGPR: 2
; COMPUTE_PGM_RSRC2:TRAP_HANDLER: 0
; COMPUTE_PGM_RSRC2:TGID_X_EN: 1
; COMPUTE_PGM_RSRC2:TGID_Y_EN: 0
; COMPUTE_PGM_RSRC2:TGID_Z_EN: 0
; COMPUTE_PGM_RSRC2:TIDIG_COMP_CNT: 0
	.section	.text._Z30fast_hadamard_transform_kernelI37fast_hadamard_transform_kernel_traitsILi32ELi9E6__halfEEv18HadamardParamsBase,"axG",@progbits,_Z30fast_hadamard_transform_kernelI37fast_hadamard_transform_kernel_traitsILi32ELi9E6__halfEEv18HadamardParamsBase,comdat
	.protected	_Z30fast_hadamard_transform_kernelI37fast_hadamard_transform_kernel_traitsILi32ELi9E6__halfEEv18HadamardParamsBase ; -- Begin function _Z30fast_hadamard_transform_kernelI37fast_hadamard_transform_kernel_traitsILi32ELi9E6__halfEEv18HadamardParamsBase
	.globl	_Z30fast_hadamard_transform_kernelI37fast_hadamard_transform_kernel_traitsILi32ELi9E6__halfEEv18HadamardParamsBase
	.p2align	8
	.type	_Z30fast_hadamard_transform_kernelI37fast_hadamard_transform_kernel_traitsILi32ELi9E6__halfEEv18HadamardParamsBase,@function
_Z30fast_hadamard_transform_kernelI37fast_hadamard_transform_kernel_traitsILi32ELi9E6__halfEEv18HadamardParamsBase: ; @_Z30fast_hadamard_transform_kernelI37fast_hadamard_transform_kernel_traitsILi32ELi9E6__halfEEv18HadamardParamsBase
; %bb.0:
	s_clause 0x3
	s_load_b128 s[8:11], s[0:1], 0x10
	s_load_b32 s14, s[0:1], 0x4
	s_load_b128 s[4:7], s[0:1], 0x28
	s_load_b32 s15, s[0:1], 0x44
	s_bfe_u32 s3, ttmp6, 0x4000c
	s_and_b32 s2, ttmp6, 15
	s_add_co_i32 s3, s3, 1
	s_getreg_b32 s12, hwreg(HW_REG_IB_STS2, 6, 4)
	s_mul_i32 s3, ttmp9, s3
	v_dual_mov_b32 v11, 0 :: v_dual_lshlrev_b32 v1, 3, v0
	s_add_co_i32 s2, s2, s3
	s_cmp_eq_u32 s12, 0
	v_dual_mov_b32 v2, 0 :: v_dual_mov_b32 v10, 0
	s_cselect_b32 s12, ttmp9, s2
	v_dual_mov_b32 v12, 0 :: v_dual_mov_b32 v13, 0
	s_ashr_i32 s13, s12, 31
	v_dual_mov_b32 v14, 0 :: v_dual_mov_b32 v15, 0
	s_wait_kmcnt 0x0
	s_mul_u64 s[2:3], s[8:9], s[12:13]
	v_cmp_gt_u32_e32 vcc_lo, s14, v1
	v_dual_mov_b32 v16, 0 :: v_dual_mov_b32 v17, 0
	s_lshl_b64 s[2:3], s[2:3], 1
	s_delay_alu instid0(SALU_CYCLE_1)
	s_add_nc_u64 s[2:3], s[4:5], s[2:3]
	s_and_saveexec_b32 s4, vcc_lo
	s_cbranch_execz .LBB19_2
; %bb.1:
	global_load_b128 v[4:7], v0, s[2:3] scale_offset
	s_wait_loadcnt 0x0
	v_cvt_f32_f16_e32 v16, v4
	v_dual_lshrrev_b32 v1, 16, v4 :: v_dual_lshrrev_b32 v3, 16, v5
	v_cvt_f32_f16_e32 v14, v5
	v_dual_lshrrev_b32 v4, 16, v6 :: v_dual_lshrrev_b32 v5, 16, v7
	v_cvt_f32_f16_e32 v12, v6
	v_cvt_f32_f16_e32 v10, v7
	;; [unrolled: 1-line block ×6, first 2 shown]
.LBB19_2:
	s_or_b32 exec_lo, exec_lo, s4
	s_load_b32 s8, s[0:1], 0x20
	s_and_b32 s4, 0xffff, s15
	s_delay_alu instid0(SALU_CYCLE_1) | instskip(SKIP_2) | instid1(VALU_DEP_3)
	v_dual_mov_b32 v3, 0 :: v_dual_add_nc_u32 v1, s4, v0
	v_dual_mov_b32 v5, 0 :: v_dual_mov_b32 v7, 0
	v_dual_mov_b32 v8, 0 :: v_dual_mov_b32 v4, 0
	v_dual_mov_b32 v9, 0 :: v_dual_lshlrev_b32 v6, 3, v1
	s_wait_xcnt 0x0
	s_delay_alu instid0(VALU_DEP_1)
	v_cmp_gt_u32_e64 s0, s14, v6
	v_mov_b32_e32 v6, 0
	s_and_saveexec_b32 s1, s0
	s_cbranch_execz .LBB19_4
; %bb.3:
	global_load_b128 v[18:21], v1, s[2:3] scale_offset
	s_wait_loadcnt 0x0
	v_cvt_f32_f16_e32 v8, v18
	v_dual_lshrrev_b32 v3, 16, v18 :: v_dual_lshrrev_b32 v5, 16, v19
	v_cvt_f32_f16_e32 v6, v19
	v_dual_lshrrev_b32 v18, 16, v20 :: v_dual_lshrrev_b32 v19, 16, v21
	v_cvt_f32_f16_e32 v4, v20
	v_cvt_f32_f16_e32 v2, v21
	;; [unrolled: 1-line block ×6, first 2 shown]
.LBB19_4:
	s_or_b32 exec_lo, exec_lo, s1
	v_mbcnt_lo_u32_b32 v34, -1, 0
	v_pk_add_f32 v[18:19], v[16:17], v[16:17] op_sel_hi:[0,1] neg_lo:[0,1] neg_hi:[0,1]
	v_add_f32_e32 v18, v16, v17
	v_pk_add_f32 v[16:17], v[14:15], v[14:15] op_sel_hi:[0,1] neg_lo:[0,1] neg_hi:[0,1]
	v_add_f32_e32 v16, v14, v15
	v_pk_add_f32 v[14:15], v[12:13], v[12:13] op_sel_hi:[0,1] neg_lo:[0,1] neg_hi:[0,1]
	v_dual_add_f32 v14, v12, v13 :: v_dual_bitop2_b32 v12, 1, v34 bitop3:0x14
	v_pk_add_f32 v[20:21], v[10:11], v[10:11] op_sel_hi:[0,1] neg_lo:[0,1] neg_hi:[0,1]
	v_dual_add_f32 v20, v10, v11 :: v_dual_bitop2_b32 v22, 2, v34 bitop3:0x14
	v_pk_add_f32 v[10:11], v[16:17], v[18:19]
	s_delay_alu instid0(VALU_DEP_4)
	v_cmp_gt_i32_e64 s1, 32, v12
	s_mul_u64 s[10:11], s[10:11], s[12:13]
	s_wait_kmcnt 0x0
	s_mov_b32 s9, s8
	s_lshl_b64 s[10:11], s[10:11], 1
	v_and_b32_e32 v25, 1, v0
	v_cndmask_b32_e64 v23, v34, v12, s1
	v_pk_add_f32 v[12:13], v[20:21], v[14:15]
	v_cmp_gt_i32_e64 s1, 32, v22
	v_pk_add_f32 v[14:15], v[14:15], v[20:21] neg_lo:[0,1] neg_hi:[0,1]
	v_pk_add_f32 v[20:21], v[8:9], v[8:9] op_sel_hi:[0,1] neg_lo:[0,1] neg_hi:[0,1]
	v_add_f32_e32 v20, v8, v9
	v_pk_add_f32 v[8:9], v[6:7], v[6:7] op_sel_hi:[0,1] neg_lo:[0,1] neg_hi:[0,1]
	v_dual_cndmask_b32 v24, v34, v22, s1 :: v_dual_lshlrev_b32 v28, 2, v23
	v_pk_add_f32 v[22:23], v[12:13], v[10:11]
	v_pk_add_f32 v[10:11], v[10:11], v[12:13] neg_lo:[0,1] neg_hi:[0,1]
	v_pk_add_f32 v[12:13], v[18:19], v[16:17] neg_lo:[0,1] neg_hi:[0,1]
	v_add_f32_e32 v8, v6, v7
	v_pk_add_f32 v[6:7], v[2:3], v[2:3] op_sel_hi:[0,1] neg_lo:[0,1] neg_hi:[0,1]
	v_cmp_eq_u32_e64 s2, 0, v25
	ds_bpermute_b32 v16, v28, v10
	ds_bpermute_b32 v17, v28, v11
	v_pk_add_f32 v[18:19], v[14:15], v[12:13]
	v_pk_add_f32 v[12:13], v[12:13], v[14:15] neg_lo:[0,1] neg_hi:[0,1]
	v_pk_add_f32 v[14:15], v[4:5], v[4:5] op_sel_hi:[0,1] neg_lo:[0,1] neg_hi:[0,1]
	v_dual_add_f32 v14, v4, v5 :: v_dual_add_f32 v6, v2, v3
	v_dual_cndmask_b32 v25, -v22, v22, s2 :: v_dual_bitop2_b32 v26, 2, v0 bitop3:0x40
	v_dual_lshlrev_b32 v35, 2, v24 :: v_dual_cndmask_b32 v29, -v23, v23, s2
	ds_bpermute_b32 v24, v28, v22
	ds_bpermute_b32 v27, v28, v23
	v_dual_cndmask_b32 v11, -v11, v11, s2 :: v_dual_cndmask_b32 v10, -v10, v10, s2
	v_pk_add_f32 v[4:5], v[8:9], v[20:21]
	v_pk_add_f32 v[22:23], v[6:7], v[14:15]
	ds_bpermute_b32 v30, v28, v18
	ds_bpermute_b32 v31, v28, v19
	v_pk_add_f32 v[8:9], v[20:21], v[8:9] neg_lo:[0,1] neg_hi:[0,1]
	v_pk_add_f32 v[6:7], v[14:15], v[6:7] neg_lo:[0,1] neg_hi:[0,1]
	s_wait_dscnt 0x4
	v_pk_add_f32 v[10:11], v[10:11], v[16:17]
	v_pk_add_f32 v[16:17], v[22:23], v[4:5]
	ds_bpermute_b32 v2, v28, v12
	v_dual_cndmask_b32 v18, -v18, v18, s2 :: v_dual_cndmask_b32 v12, -v12, v12, s2
	v_pk_add_f32 v[4:5], v[4:5], v[22:23] neg_lo:[0,1] neg_hi:[0,1]
	ds_bpermute_b32 v33, v28, v16
	ds_bpermute_b32 v22, v28, v17
	v_dual_cndmask_b32 v16, -v16, v16, s2 :: v_dual_cndmask_b32 v23, -v17, v17, s2
	s_wait_dscnt 0x6
	v_add_f32_e32 v32, v25, v24
	s_wait_dscnt 0x5
	v_add_f32_e32 v29, v29, v27
	v_pk_add_f32 v[20:21], v[6:7], v[8:9]
	v_cndmask_b32_e64 v19, -v19, v19, s2
	ds_bpermute_b32 v3, v28, v13
	ds_bpermute_b32 v24, v35, v32
	ds_bpermute_b32 v25, v35, v29
	ds_bpermute_b32 v36, v28, v20
	ds_bpermute_b32 v37, v28, v21
	v_cmp_eq_u32_e64 s1, 0, v26
	s_wait_dscnt 0x9
	v_dual_cndmask_b32 v13, -v13, v13, s2 :: v_dual_add_f32 v30, v18, v30
	s_wait_dscnt 0x8
	v_add_f32_e32 v31, v19, v31
	ds_bpermute_b32 v18, v28, v4
	ds_bpermute_b32 v19, v28, v5
	v_dual_cndmask_b32 v5, -v5, v5, s2 :: v_dual_cndmask_b32 v4, -v4, v4, s2
	s_wait_dscnt 0x8
	v_dual_add_f32 v33, v16, v33 :: v_dual_bitop2_b32 v16, 4, v34 bitop3:0x14
	s_wait_dscnt 0x7
	v_dual_cndmask_b32 v17, -v29, v29, s1 :: v_dual_add_f32 v29, v23, v22
	v_pk_add_f32 v[6:7], v[8:9], v[6:7] neg_lo:[0,1] neg_hi:[0,1]
	ds_bpermute_b32 v26, v35, v10
	v_cmp_gt_i32_e64 s3, 32, v16
	s_wait_dscnt 0x7
	v_pk_add_f32 v[2:3], v[12:13], v[2:3]
	ds_bpermute_b32 v12, v35, v30
	ds_bpermute_b32 v8, v28, v6
	;; [unrolled: 1-line block ×3, first 2 shown]
	v_cndmask_b32_e64 v38, v34, v16, s3
	v_dual_cndmask_b32 v16, -v32, v32, s1 :: v_dual_cndmask_b32 v7, -v7, v7, s2
	v_cndmask_b32_e64 v6, -v6, v6, s2
	ds_bpermute_b32 v13, v35, v31
	v_lshlrev_b32_e32 v38, 2, v38
	s_wait_dscnt 0x9
	v_pk_add_f32 v[16:17], v[16:17], v[24:25]
	v_dual_cndmask_b32 v24, -v20, v20, s2 :: v_dual_cndmask_b32 v25, -v21, v21, s2
	s_wait_dscnt 0x5
	v_pk_add_f32 v[4:5], v[4:5], v[18:19]
	ds_bpermute_b32 v18, v35, v33
	ds_bpermute_b32 v19, v35, v29
	v_dual_add_f32 v32, v24, v36 :: v_dual_add_f32 v36, v25, v37
	v_and_b32_e32 v25, 4, v0
	ds_bpermute_b32 v21, v38, v17
	ds_bpermute_b32 v20, v38, v16
	;; [unrolled: 1-line block ×3, first 2 shown]
	v_cndmask_b32_e64 v29, -v29, v29, s1
	v_cmp_eq_u32_e64 s3, 0, v25
	v_xor_b32_e32 v37, 8, v34
	ds_bpermute_b32 v25, v35, v36
	v_cndmask_b32_e64 v32, -v32, v32, s1
	s_wait_dscnt 0x7
	v_pk_add_f32 v[6:7], v[6:7], v[8:9]
	v_cndmask_b32_e64 v17, -v17, v17, s3
	v_cmp_gt_i32_e64 s4, 32, v37
	v_cndmask_b32_e64 v16, -v16, v16, s3
	ds_bpermute_b32 v27, v35, v11
	ds_bpermute_b32 v14, v35, v2
	;; [unrolled: 1-line block ×3, first 2 shown]
	v_cndmask_b32_e64 v28, v34, v37, s4
	ds_bpermute_b32 v22, v35, v4
	ds_bpermute_b32 v23, v35, v5
	v_dual_cndmask_b32 v11, -v11, v11, s1 :: v_dual_bitop2_b32 v37, 8, v0 bitop3:0x40
	v_dual_cndmask_b32 v2, -v2, v2, s1 :: v_dual_lshlrev_b32 v39, 2, v28
	v_dual_cndmask_b32 v28, -v33, v33, s1 :: v_dual_cndmask_b32 v33, -v36, v36, s1
	s_wait_dscnt 0x7
	v_pk_add_f32 v[16:17], v[16:17], v[20:21]
	v_dual_cndmask_b32 v21, -v31, v31, s1 :: v_dual_cndmask_b32 v20, -v30, v30, s1
	s_delay_alu instid0(VALU_DEP_3)
	v_pk_add_f32 v[8:9], v[28:29], v[18:19]
	s_wait_dscnt 0x5
	v_pk_add_f32 v[18:19], v[32:33], v[24:25]
	ds_bpermute_b32 v30, v39, v16
	ds_bpermute_b32 v31, v39, v17
	;; [unrolled: 1-line block ×6, first 2 shown]
	v_dual_cndmask_b32 v19, -v19, v19, s3 :: v_dual_cndmask_b32 v18, -v18, v18, s3
	v_pk_add_f32 v[12:13], v[20:21], v[12:13]
	v_cmp_eq_u32_e64 s4, 0, v37
	v_xor_b32_e32 v37, 16, v34
	v_dual_cndmask_b32 v10, -v10, v10, s1 :: v_dual_cndmask_b32 v3, -v3, v3, s1
	v_cndmask_b32_e64 v5, -v5, v5, s1
	ds_bpermute_b32 v21, v38, v13
	v_dual_cndmask_b32 v17, -v17, v17, s4 :: v_dual_cndmask_b32 v16, -v16, v16, s4
	v_cndmask_b32_e64 v13, -v13, v13, s3
	v_cmp_gt_i32_e64 s5, 32, v37
	v_dual_cndmask_b32 v7, -v7, v7, s1 :: v_dual_cndmask_b32 v6, -v6, v6, s1
	ds_bpermute_b32 v20, v38, v12
	v_and_b32_e32 v36, 16, v0
	s_wait_dscnt 0x6
	v_pk_add_f32 v[16:17], v[16:17], v[30:31]
	v_cndmask_b32_e64 v30, v34, v37, s5
	s_wait_dscnt 0x2
	v_pk_add_f32 v[18:19], v[18:19], v[28:29]
	v_cndmask_b32_e64 v4, -v4, v4, s1
	v_pk_add_f32 v[10:11], v[10:11], v[26:27]
	v_pk_add_f32 v[2:3], v[2:3], v[14:15]
	;; [unrolled: 1-line block ×3, first 2 shown]
	ds_bpermute_b32 v29, v39, v19
	v_cndmask_b32_e64 v19, -v19, v19, s4
	ds_bpermute_b32 v28, v39, v18
	v_cndmask_b32_e64 v18, -v18, v18, s4
	v_pk_add_f32 v[4:5], v[4:5], v[22:23]
	ds_bpermute_b32 v24, v38, v8
	ds_bpermute_b32 v25, v38, v9
	v_dual_cndmask_b32 v8, -v8, v8, s3 :: v_dual_lshlrev_b32 v35, 2, v30
	ds_bpermute_b32 v14, v38, v10
	ds_bpermute_b32 v15, v38, v11
	;; [unrolled: 1-line block ×8, first 2 shown]
	v_dual_cndmask_b32 v12, -v12, v12, s3 :: v_dual_cndmask_b32 v9, -v9, v9, s3
	v_dual_cndmask_b32 v11, -v11, v11, s3 :: v_dual_cndmask_b32 v10, -v10, v10, s3
	;; [unrolled: 1-line block ×3, first 2 shown]
	s_wait_dscnt 0xc
	s_delay_alu instid0(VALU_DEP_3)
	v_pk_add_f32 v[12:13], v[12:13], v[20:21]
	v_dual_cndmask_b32 v5, -v5, v5, s3 :: v_dual_cndmask_b32 v7, -v7, v7, s3
	v_dual_cndmask_b32 v6, -v6, v6, s3 :: v_dual_cndmask_b32 v4, -v4, v4, s3
	s_wait_dscnt 0x8
	v_pk_add_f32 v[8:9], v[8:9], v[24:25]
	ds_bpermute_b32 v20, v39, v12
	ds_bpermute_b32 v21, v39, v13
	s_wait_dscnt 0x8
	v_pk_add_f32 v[10:11], v[10:11], v[14:15]
	s_wait_dscnt 0x6
	v_pk_add_f32 v[2:3], v[2:3], v[22:23]
	ds_bpermute_b32 v24, v39, v8
	ds_bpermute_b32 v25, v39, v9
	s_wait_dscnt 0x5
	v_pk_add_f32 v[6:7], v[6:7], v[30:31]
	s_wait_dscnt 0x4
	v_pk_add_f32 v[4:5], v[4:5], v[26:27]
	v_pk_add_f32 v[18:19], v[18:19], v[28:29]
	ds_bpermute_b32 v14, v39, v10
	ds_bpermute_b32 v15, v39, v11
	;; [unrolled: 1-line block ×8, first 2 shown]
	v_dual_cndmask_b32 v13, -v13, v13, s4 :: v_dual_cndmask_b32 v12, -v12, v12, s4
	v_dual_cndmask_b32 v9, -v9, v9, s4 :: v_dual_cndmask_b32 v8, -v8, v8, s4
	;; [unrolled: 1-line block ×3, first 2 shown]
	s_wait_dscnt 0xa
	s_delay_alu instid0(VALU_DEP_3)
	v_pk_add_f32 v[12:13], v[12:13], v[20:21]
	v_dual_cndmask_b32 v3, -v3, v3, s4 :: v_dual_cndmask_b32 v2, -v2, v2, s4
	v_dual_cndmask_b32 v5, -v5, v5, s4 :: v_dual_cndmask_b32 v7, -v7, v7, s4
	v_dual_cndmask_b32 v6, -v6, v6, s4 :: v_dual_cndmask_b32 v4, -v4, v4, s4
	s_wait_dscnt 0x8
	v_pk_add_f32 v[20:21], v[8:9], v[24:25]
	ds_bpermute_b32 v24, v35, v16
	ds_bpermute_b32 v25, v35, v17
	;; [unrolled: 1-line block ×4, first 2 shown]
	s_wait_dscnt 0xa
	v_pk_add_f32 v[10:11], v[10:11], v[14:15]
	s_wait_dscnt 0x8
	v_pk_add_f32 v[22:23], v[2:3], v[22:23]
	;; [unrolled: 2-line block ×4, first 2 shown]
	v_cmp_eq_u32_e64 s2, 0, v36
	ds_bpermute_b32 v30, v35, v20
	ds_bpermute_b32 v32, v35, v18
	;; [unrolled: 1-line block ×12, first 2 shown]
	v_dual_cndmask_b32 v17, -v17, v17, s2 :: v_dual_cndmask_b32 v16, -v16, v16, s2
	v_dual_cndmask_b32 v13, -v13, v13, s2 :: v_dual_cndmask_b32 v12, -v12, v12, s2
	;; [unrolled: 1-line block ×3, first 2 shown]
	s_wait_dscnt 0xe
	s_delay_alu instid0(VALU_DEP_3)
	v_pk_add_f32 v[2:3], v[16:17], v[24:25]
	v_dual_cndmask_b32 v17, -v11, v11, s2 :: v_dual_cndmask_b32 v16, -v10, v10, s2
	s_wait_dscnt 0xc
	v_pk_add_f32 v[8:9], v[12:13], v[8:9]
	v_dual_cndmask_b32 v13, -v21, v21, s2 :: v_dual_cndmask_b32 v12, -v20, v20, s2
	v_dual_cndmask_b32 v19, -v23, v23, s2 :: v_dual_cndmask_b32 v18, -v22, v22, s2
	;; [unrolled: 1-line block ×4, first 2 shown]
	s_wait_dscnt 0x9
	v_pk_add_f32 v[14:15], v[14:15], v[32:33]
	s_wait_dscnt 0x8
	v_pk_add_f32 v[10:11], v[12:13], v[30:31]
	;; [unrolled: 2-line block ×3, first 2 shown]
	v_pk_add_f32 v[4:5], v[16:17], v[26:27]
	s_wait_dscnt 0x1
	v_pk_add_f32 v[12:13], v[22:23], v[36:37]
	s_wait_dscnt 0x0
	v_pk_add_f32 v[16:17], v[20:21], v[34:35]
	s_add_nc_u64 s[2:3], s[6:7], s[10:11]
	s_and_saveexec_b32 s1, vcc_lo
	s_cbranch_execnz .LBB19_7
; %bb.5:
	s_or_b32 exec_lo, exec_lo, s1
	s_and_saveexec_b32 s1, s0
	s_cbranch_execnz .LBB19_8
.LBB19_6:
	s_endpgm
.LBB19_7:
	s_mov_b32 s4, s8
	s_mov_b32 s5, s8
	v_mov_b64_e32 v[24:25], s[8:9]
	v_mov_b64_e32 v[22:23], s[4:5]
	v_pk_add_f32 v[18:19], v[8:9], v[14:15]
	v_pk_add_f32 v[20:21], v[2:3], v[10:11]
	;; [unrolled: 1-line block ×4, first 2 shown]
	s_delay_alu instid0(VALU_DEP_3) | instskip(SKIP_1) | instid1(VALU_DEP_4)
	v_pk_mul_f32 v[20:21], v[24:25], v[20:21]
	v_pk_mul_f32 v[18:19], v[22:23], v[18:19]
	v_pk_mul_f32 v[22:23], v[22:23], v[26:27]
	s_delay_alu instid0(VALU_DEP_4) | instskip(NEXT) | instid1(VALU_DEP_3)
	v_pk_mul_f32 v[24:25], v[24:25], v[28:29]
	v_cvt_pk_f16_f32 v19, v18, v19
	v_cvt_pk_f16_f32 v18, v20, v21
	s_delay_alu instid0(VALU_DEP_4) | instskip(NEXT) | instid1(VALU_DEP_4)
	v_cvt_pk_f16_f32 v21, v22, v23
	v_cvt_pk_f16_f32 v20, v24, v25
	global_store_b128 v0, v[18:21], s[2:3] scale_offset
	s_wait_xcnt 0x0
	s_or_b32 exec_lo, exec_lo, s1
	s_and_saveexec_b32 s1, s0
	s_cbranch_execz .LBB19_6
.LBB19_8:
	v_dual_sub_f32 v9, v9, v15 :: v_dual_sub_f32 v8, v8, v14
	v_mov_b64_e32 v[14:15], s[8:9]
	s_mov_b32 s9, s8
	v_dual_sub_f32 v3, v3, v11 :: v_dual_sub_f32 v2, v2, v10
	v_mov_b64_e32 v[10:11], s[8:9]
	v_dual_sub_f32 v7, v7, v13 :: v_dual_sub_f32 v6, v6, v12
	v_dual_sub_f32 v5, v5, v17 :: v_dual_sub_f32 v4, v4, v16
	s_delay_alu instid0(VALU_DEP_4) | instskip(NEXT) | instid1(VALU_DEP_4)
	v_pk_mul_f32 v[12:13], v[14:15], v[2:3]
	v_pk_mul_f32 v[8:9], v[10:11], v[8:9]
	s_delay_alu instid0(VALU_DEP_4) | instskip(NEXT) | instid1(VALU_DEP_4)
	v_pk_mul_f32 v[6:7], v[10:11], v[6:7]
	v_pk_mul_f32 v[10:11], v[14:15], v[4:5]
	s_delay_alu instid0(VALU_DEP_4) | instskip(NEXT) | instid1(VALU_DEP_4)
	v_cvt_pk_f16_f32 v2, v12, v13
	v_cvt_pk_f16_f32 v3, v8, v9
	s_delay_alu instid0(VALU_DEP_4) | instskip(NEXT) | instid1(VALU_DEP_4)
	v_cvt_pk_f16_f32 v5, v6, v7
	v_cvt_pk_f16_f32 v4, v10, v11
	global_store_b128 v1, v[2:5], s[2:3] scale_offset
	s_endpgm
	.section	.rodata,"a",@progbits
	.p2align	6, 0x0
	.amdhsa_kernel _Z30fast_hadamard_transform_kernelI37fast_hadamard_transform_kernel_traitsILi32ELi9E6__halfEEv18HadamardParamsBase
		.amdhsa_group_segment_fixed_size 0
		.amdhsa_private_segment_fixed_size 0
		.amdhsa_kernarg_size 312
		.amdhsa_user_sgpr_count 2
		.amdhsa_user_sgpr_dispatch_ptr 0
		.amdhsa_user_sgpr_queue_ptr 0
		.amdhsa_user_sgpr_kernarg_segment_ptr 1
		.amdhsa_user_sgpr_dispatch_id 0
		.amdhsa_user_sgpr_kernarg_preload_length 0
		.amdhsa_user_sgpr_kernarg_preload_offset 0
		.amdhsa_user_sgpr_private_segment_size 0
		.amdhsa_wavefront_size32 1
		.amdhsa_uses_dynamic_stack 0
		.amdhsa_enable_private_segment 0
		.amdhsa_system_sgpr_workgroup_id_x 1
		.amdhsa_system_sgpr_workgroup_id_y 0
		.amdhsa_system_sgpr_workgroup_id_z 0
		.amdhsa_system_sgpr_workgroup_info 0
		.amdhsa_system_vgpr_workitem_id 0
		.amdhsa_next_free_vgpr 40
		.amdhsa_next_free_sgpr 16
		.amdhsa_named_barrier_count 0
		.amdhsa_reserve_vcc 1
		.amdhsa_float_round_mode_32 0
		.amdhsa_float_round_mode_16_64 0
		.amdhsa_float_denorm_mode_32 3
		.amdhsa_float_denorm_mode_16_64 3
		.amdhsa_fp16_overflow 0
		.amdhsa_memory_ordered 1
		.amdhsa_forward_progress 1
		.amdhsa_inst_pref_size 22
		.amdhsa_round_robin_scheduling 0
		.amdhsa_exception_fp_ieee_invalid_op 0
		.amdhsa_exception_fp_denorm_src 0
		.amdhsa_exception_fp_ieee_div_zero 0
		.amdhsa_exception_fp_ieee_overflow 0
		.amdhsa_exception_fp_ieee_underflow 0
		.amdhsa_exception_fp_ieee_inexact 0
		.amdhsa_exception_int_div_zero 0
	.end_amdhsa_kernel
	.section	.text._Z30fast_hadamard_transform_kernelI37fast_hadamard_transform_kernel_traitsILi32ELi9E6__halfEEv18HadamardParamsBase,"axG",@progbits,_Z30fast_hadamard_transform_kernelI37fast_hadamard_transform_kernel_traitsILi32ELi9E6__halfEEv18HadamardParamsBase,comdat
.Lfunc_end19:
	.size	_Z30fast_hadamard_transform_kernelI37fast_hadamard_transform_kernel_traitsILi32ELi9E6__halfEEv18HadamardParamsBase, .Lfunc_end19-_Z30fast_hadamard_transform_kernelI37fast_hadamard_transform_kernel_traitsILi32ELi9E6__halfEEv18HadamardParamsBase
                                        ; -- End function
	.set _Z30fast_hadamard_transform_kernelI37fast_hadamard_transform_kernel_traitsILi32ELi9E6__halfEEv18HadamardParamsBase.num_vgpr, 40
	.set _Z30fast_hadamard_transform_kernelI37fast_hadamard_transform_kernel_traitsILi32ELi9E6__halfEEv18HadamardParamsBase.num_agpr, 0
	.set _Z30fast_hadamard_transform_kernelI37fast_hadamard_transform_kernel_traitsILi32ELi9E6__halfEEv18HadamardParamsBase.numbered_sgpr, 16
	.set _Z30fast_hadamard_transform_kernelI37fast_hadamard_transform_kernel_traitsILi32ELi9E6__halfEEv18HadamardParamsBase.num_named_barrier, 0
	.set _Z30fast_hadamard_transform_kernelI37fast_hadamard_transform_kernel_traitsILi32ELi9E6__halfEEv18HadamardParamsBase.private_seg_size, 0
	.set _Z30fast_hadamard_transform_kernelI37fast_hadamard_transform_kernel_traitsILi32ELi9E6__halfEEv18HadamardParamsBase.uses_vcc, 1
	.set _Z30fast_hadamard_transform_kernelI37fast_hadamard_transform_kernel_traitsILi32ELi9E6__halfEEv18HadamardParamsBase.uses_flat_scratch, 0
	.set _Z30fast_hadamard_transform_kernelI37fast_hadamard_transform_kernel_traitsILi32ELi9E6__halfEEv18HadamardParamsBase.has_dyn_sized_stack, 0
	.set _Z30fast_hadamard_transform_kernelI37fast_hadamard_transform_kernel_traitsILi32ELi9E6__halfEEv18HadamardParamsBase.has_recursion, 0
	.set _Z30fast_hadamard_transform_kernelI37fast_hadamard_transform_kernel_traitsILi32ELi9E6__halfEEv18HadamardParamsBase.has_indirect_call, 0
	.section	.AMDGPU.csdata,"",@progbits
; Kernel info:
; codeLenInByte = 2800
; TotalNumSgprs: 18
; NumVgprs: 40
; ScratchSize: 0
; MemoryBound: 0
; FloatMode: 240
; IeeeMode: 1
; LDSByteSize: 0 bytes/workgroup (compile time only)
; SGPRBlocks: 0
; VGPRBlocks: 2
; NumSGPRsForWavesPerEU: 18
; NumVGPRsForWavesPerEU: 40
; NamedBarCnt: 0
; Occupancy: 16
; WaveLimiterHint : 0
; COMPUTE_PGM_RSRC2:SCRATCH_EN: 0
; COMPUTE_PGM_RSRC2:USER_SGPR: 2
; COMPUTE_PGM_RSRC2:TRAP_HANDLER: 0
; COMPUTE_PGM_RSRC2:TGID_X_EN: 1
; COMPUTE_PGM_RSRC2:TGID_Y_EN: 0
; COMPUTE_PGM_RSRC2:TGID_Z_EN: 0
; COMPUTE_PGM_RSRC2:TIDIG_COMP_CNT: 0
	.section	.text._Z30fast_hadamard_transform_kernelI37fast_hadamard_transform_kernel_traitsILi128ELi10E6__halfEEv18HadamardParamsBase,"axG",@progbits,_Z30fast_hadamard_transform_kernelI37fast_hadamard_transform_kernel_traitsILi128ELi10E6__halfEEv18HadamardParamsBase,comdat
	.protected	_Z30fast_hadamard_transform_kernelI37fast_hadamard_transform_kernel_traitsILi128ELi10E6__halfEEv18HadamardParamsBase ; -- Begin function _Z30fast_hadamard_transform_kernelI37fast_hadamard_transform_kernel_traitsILi128ELi10E6__halfEEv18HadamardParamsBase
	.globl	_Z30fast_hadamard_transform_kernelI37fast_hadamard_transform_kernel_traitsILi128ELi10E6__halfEEv18HadamardParamsBase
	.p2align	8
	.type	_Z30fast_hadamard_transform_kernelI37fast_hadamard_transform_kernel_traitsILi128ELi10E6__halfEEv18HadamardParamsBase,@function
_Z30fast_hadamard_transform_kernelI37fast_hadamard_transform_kernel_traitsILi128ELi10E6__halfEEv18HadamardParamsBase: ; @_Z30fast_hadamard_transform_kernelI37fast_hadamard_transform_kernel_traitsILi128ELi10E6__halfEEv18HadamardParamsBase
; %bb.0:
	s_load_b32 s2, s[0:1], 0x4
	s_bfe_u32 s4, ttmp6, 0x4000c
	v_dual_mov_b32 v2, 0 :: v_dual_lshlrev_b32 v1, 3, v0
	s_add_co_i32 s4, s4, 1
	s_and_b32 s3, ttmp6, 15
	s_mul_i32 s4, ttmp9, s4
	s_getreg_b32 s5, hwreg(HW_REG_IB_STS2, 6, 4)
	s_add_co_i32 s3, s3, s4
	s_cmp_eq_u32 s5, 0
	v_dual_mov_b32 v3, v2 :: v_dual_mov_b32 v4, v2
	v_dual_mov_b32 v5, v2 :: v_dual_mov_b32 v6, v2
	;; [unrolled: 1-line block ×3, first 2 shown]
	v_mov_b32_e32 v9, v2
	s_cselect_b32 s6, ttmp9, s3
	s_delay_alu instid0(SALU_CYCLE_1)
	s_ashr_i32 s7, s6, 31
	s_wait_kmcnt 0x0
	v_cmp_gt_u32_e32 vcc_lo, s2, v1
	s_and_saveexec_b32 s2, vcc_lo
	s_cbranch_execz .LBB20_2
; %bb.1:
	s_clause 0x1
	s_load_b64 s[4:5], s[0:1], 0x10
	s_load_b64 s[8:9], s[0:1], 0x28
	s_wait_kmcnt 0x0
	s_mul_u64 s[4:5], s[4:5], s[6:7]
	s_delay_alu instid0(SALU_CYCLE_1) | instskip(NEXT) | instid1(SALU_CYCLE_1)
	s_lshl_b64 s[4:5], s[4:5], 1
	s_add_nc_u64 s[4:5], s[8:9], s[4:5]
	global_load_b128 v[10:13], v0, s[4:5] scale_offset
	s_wait_loadcnt 0x0
	v_cvt_f32_f16_e32 v8, v10
	v_dual_lshrrev_b32 v1, 16, v10 :: v_dual_lshrrev_b32 v3, 16, v11
	v_dual_lshrrev_b32 v5, 16, v12 :: v_dual_lshrrev_b32 v10, 16, v13
	v_cvt_f32_f16_e32 v6, v11
	v_cvt_f32_f16_e32 v4, v12
	;; [unrolled: 1-line block ×7, first 2 shown]
.LBB20_2:
	s_or_b32 exec_lo, exec_lo, s2
	v_mbcnt_lo_u32_b32 v1, -1, 0
	v_pk_add_f32 v[10:11], v[8:9], v[8:9] op_sel_hi:[0,1] neg_lo:[0,1] neg_hi:[0,1]
	v_add_f32_e32 v10, v8, v9
	v_pk_add_f32 v[8:9], v[6:7], v[6:7] op_sel_hi:[0,1] neg_lo:[0,1] neg_hi:[0,1]
	v_add_f32_e32 v8, v6, v7
	;; [unrolled: 2-line block ×3, first 2 shown]
	v_xor_b32_e32 v4, 1, v1
	v_pk_add_f32 v[12:13], v[2:3], v[2:3] op_sel_hi:[0,1] neg_lo:[0,1] neg_hi:[0,1]
	v_add_f32_e32 v12, v2, v3
	v_pk_add_f32 v[2:3], v[8:9], v[10:11]
	v_pk_add_f32 v[8:9], v[10:11], v[8:9] neg_lo:[0,1] neg_hi:[0,1]
	v_cmp_gt_i32_e64 s2, 32, v4
	s_barrier_signal -1
	s_barrier_wait -1
	s_delay_alu instid0(VALU_DEP_1) | instskip(SKIP_4) | instid1(VALU_DEP_3)
	v_cndmask_b32_e64 v14, v1, v4, s2
	v_pk_add_f32 v[4:5], v[12:13], v[6:7]
	v_pk_add_f32 v[6:7], v[6:7], v[12:13] neg_lo:[0,1] neg_hi:[0,1]
	v_and_b32_e32 v16, 1, v0
	v_xor_b32_e32 v20, 8, v1
	v_dual_sub_f32 v15, v3, v5 :: v_dual_sub_f32 v18, v8, v6
	s_delay_alu instid0(VALU_DEP_3)
	v_cmp_eq_u32_e64 s2, 0, v16
	v_dual_lshlrev_b32 v22, 2, v14 :: v_dual_bitop2_b32 v19, 2, v1 bitop3:0x14
	v_dual_sub_f32 v14, v2, v4 :: v_dual_sub_f32 v17, v9, v7
	v_pk_add_f32 v[2:3], v[4:5], v[2:3]
	v_pk_add_f32 v[4:5], v[6:7], v[8:9]
	v_cndmask_b32_e64 v7, -v15, v15, s2
	v_cmp_gt_i32_e64 s3, 32, v19
	ds_bpermute_b32 v10, v22, v14
	ds_bpermute_b32 v11, v22, v15
	ds_bpermute_b32 v12, v22, v18
	ds_bpermute_b32 v13, v22, v17
	v_dual_cndmask_b32 v16, v1, v19, s3 :: v_dual_cndmask_b32 v6, -v14, v14, s2
	ds_bpermute_b32 v8, v22, v2
	ds_bpermute_b32 v9, v22, v3
	;; [unrolled: 1-line block ×4, first 2 shown]
	v_dual_lshlrev_b32 v23, 2, v16 :: v_dual_cndmask_b32 v17, -v17, v17, s2
	v_dual_cndmask_b32 v16, -v18, v18, s2 :: v_dual_bitop2_b32 v18, 2, v0 bitop3:0x40
	v_dual_cndmask_b32 v3, -v3, v3, s2 :: v_dual_cndmask_b32 v2, -v2, v2, s2
	v_dual_cndmask_b32 v5, -v5, v5, s2 :: v_dual_cndmask_b32 v4, -v4, v4, s2
	s_delay_alu instid0(VALU_DEP_3)
	v_cmp_eq_u32_e64 s3, 0, v18
	v_and_b32_e32 v19, 4, v0
	s_wait_dscnt 0x6
	v_pk_add_f32 v[6:7], v[6:7], v[10:11]
	v_xor_b32_e32 v18, 4, v1
	s_wait_dscnt 0x4
	v_pk_add_f32 v[10:11], v[16:17], v[12:13]
	ds_bpermute_b32 v12, v23, v6
	s_wait_dscnt 0x3
	v_pk_add_f32 v[2:3], v[2:3], v[8:9]
	ds_bpermute_b32 v13, v23, v7
	;; [unrolled: 3-line block ×3, first 2 shown]
	ds_bpermute_b32 v17, v23, v11
	ds_bpermute_b32 v8, v23, v2
	;; [unrolled: 1-line block ×5, first 2 shown]
	v_cndmask_b32_e64 v7, -v7, v7, s3
	v_cmp_gt_i32_e64 s4, 32, v18
	v_dual_cndmask_b32 v6, -v6, v6, s3 :: v_dual_cndmask_b32 v11, -v11, v11, s3
	v_dual_cndmask_b32 v10, -v10, v10, s3 :: v_dual_cndmask_b32 v3, -v3, v3, s3
	s_delay_alu instid0(VALU_DEP_3) | instskip(SKIP_3) | instid1(VALU_DEP_4)
	v_cndmask_b32_e64 v18, v1, v18, s4
	v_dual_cndmask_b32 v2, -v2, v2, s3 :: v_dual_cndmask_b32 v5, -v5, v5, s3
	v_cndmask_b32_e64 v4, -v4, v4, s3
	v_cmp_gt_i32_e64 s4, 32, v20
	v_lshlrev_b32_e32 v18, 2, v18
	s_wait_dscnt 0x6
	v_pk_add_f32 v[6:7], v[6:7], v[12:13]
	s_wait_dscnt 0x4
	v_pk_add_f32 v[10:11], v[10:11], v[16:17]
	v_cndmask_b32_e64 v20, v1, v20, s4
	s_wait_dscnt 0x2
	v_pk_add_f32 v[2:3], v[2:3], v[8:9]
	ds_bpermute_b32 v12, v18, v6
	s_wait_dscnt 0x1
	v_pk_add_f32 v[4:5], v[4:5], v[14:15]
	ds_bpermute_b32 v13, v18, v7
	ds_bpermute_b32 v8, v18, v10
	;; [unrolled: 1-line block ×7, first 2 shown]
	v_cmp_eq_u32_e64 s4, 0, v19
	v_xor_b32_e32 v18, 16, v1
	s_delay_alu instid0(VALU_DEP_2)
	v_dual_cndmask_b32 v6, -v6, v6, s4 :: v_dual_bitop2_b32 v19, 8, v0 bitop3:0x40
	v_cndmask_b32_e64 v7, -v7, v7, s4
	v_dual_cndmask_b32 v11, -v11, v11, s4 :: v_dual_cndmask_b32 v10, -v10, v10, s4
	v_dual_cndmask_b32 v3, -v3, v3, s4 :: v_dual_cndmask_b32 v2, -v2, v2, s4
	;; [unrolled: 1-line block ×3, first 2 shown]
	v_cmp_gt_i32_e64 s5, 32, v18
	v_lshlrev_b32_e32 v20, 2, v20
	s_wait_dscnt 0x6
	v_pk_add_f32 v[6:7], v[6:7], v[12:13]
	s_wait_dscnt 0x4
	v_pk_add_f32 v[8:9], v[10:11], v[8:9]
	;; [unrolled: 2-line block ×3, first 2 shown]
	v_cndmask_b32_e64 v1, v1, v18, s5
	s_wait_dscnt 0x0
	v_pk_add_f32 v[4:5], v[4:5], v[16:17]
	ds_bpermute_b32 v10, v20, v6
	ds_bpermute_b32 v11, v20, v7
	;; [unrolled: 1-line block ×8, first 2 shown]
	v_cmp_eq_u32_e64 s4, 0, v19
	v_dual_lshlrev_b32 v1, 2, v1 :: v_dual_bitop2_b32 v18, 16, v0 bitop3:0x40
	v_dual_lshrrev_b32 v19, 5, v0 :: v_dual_bitop2_b32 v20, 3, v0 bitop3:0x40
	s_delay_alu instid0(VALU_DEP_3)
	v_dual_cndmask_b32 v7, -v7, v7, s4 :: v_dual_cndmask_b32 v6, -v6, v6, s4
	v_dual_cndmask_b32 v9, -v9, v9, s4 :: v_dual_cndmask_b32 v8, -v8, v8, s4
	;; [unrolled: 1-line block ×4, first 2 shown]
	s_wait_dscnt 0x6
	v_pk_add_f32 v[6:7], v[6:7], v[10:11]
	v_lshrrev_b32_e32 v21, 2, v0
	s_wait_dscnt 0x4
	v_pk_add_f32 v[8:9], v[8:9], v[12:13]
	v_cmp_eq_u32_e64 s4, 0, v18
	s_wait_dscnt 0x2
	v_pk_add_f32 v[2:3], v[2:3], v[14:15]
	ds_bpermute_b32 v10, v1, v6
	s_wait_dscnt 0x1
	v_pk_add_f32 v[4:5], v[4:5], v[16:17]
	ds_bpermute_b32 v12, v1, v8
	ds_bpermute_b32 v13, v1, v9
	;; [unrolled: 1-line block ×7, first 2 shown]
	v_xor_b32_e32 v1, v19, v0
	v_dual_lshlrev_b32 v19, 5, v20 :: v_dual_cndmask_b32 v9, -v9, v9, s4
	v_dual_cndmask_b32 v8, -v8, v8, s4 :: v_dual_cndmask_b32 v3, -v3, v3, s4
	v_cndmask_b32_e64 v2, -v2, v2, s4
	s_delay_alu instid0(VALU_DEP_3)
	v_bitop3_b32 v24, v19, v20, v21 bitop3:0x36
	v_dual_cndmask_b32 v19, -v7, v7, s4 :: v_dual_cndmask_b32 v21, -v5, v5, s4
	v_dual_cndmask_b32 v20, -v4, v4, s4 :: v_dual_cndmask_b32 v18, -v6, v6, s4
	v_lshl_add_u32 v1, v1, 4, 0
	s_wait_dscnt 0x5
	v_pk_add_f32 v[4:5], v[8:9], v[12:13]
	s_wait_dscnt 0x3
	v_pk_add_f32 v[6:7], v[2:3], v[14:15]
	;; [unrolled: 2-line block ×4, first 2 shown]
	v_lshl_add_u32 v18, v24, 4, 0
	ds_store_b128 v1, v[6:9]
	ds_store_b128 v1, v[2:5] offset:2048
	s_wait_dscnt 0x0
	s_barrier_signal -1
	s_barrier_wait -1
	ds_load_b128 v[2:5], v18
	ds_load_b128 v[6:9], v18 offset:2048
	s_wait_dscnt 0x0
	s_barrier_signal -1
	s_barrier_wait -1
	ds_bpermute_b32 v10, v22, v2
	ds_bpermute_b32 v11, v22, v3
	;; [unrolled: 1-line block ×8, first 2 shown]
	v_dual_cndmask_b32 v3, -v3, v3, s2 :: v_dual_cndmask_b32 v2, -v2, v2, s2
	v_dual_cndmask_b32 v5, -v5, v5, s2 :: v_dual_cndmask_b32 v4, -v4, v4, s2
	;; [unrolled: 1-line block ×3, first 2 shown]
	v_cndmask_b32_e64 v9, -v9, v9, s2
	s_wait_dscnt 0x6
	v_pk_add_f32 v[2:3], v[2:3], v[10:11]
	v_cndmask_b32_e64 v8, -v8, v8, s2
	s_wait_dscnt 0x4
	v_pk_add_f32 v[4:5], v[4:5], v[12:13]
	s_wait_dscnt 0x2
	v_pk_add_f32 v[6:7], v[6:7], v[14:15]
	ds_bpermute_b32 v11, v23, v3
	v_cndmask_b32_e64 v3, -v3, v3, s3
	s_wait_dscnt 0x1
	v_pk_add_f32 v[8:9], v[8:9], v[16:17]
	ds_bpermute_b32 v10, v23, v2
	ds_bpermute_b32 v12, v23, v4
	ds_bpermute_b32 v13, v23, v5
	ds_bpermute_b32 v14, v23, v6
	ds_bpermute_b32 v16, v23, v8
	ds_bpermute_b32 v17, v23, v9
	ds_bpermute_b32 v15, v23, v7
	v_dual_cndmask_b32 v2, -v2, v2, s3 :: v_dual_cndmask_b32 v5, -v5, v5, s3
	v_dual_cndmask_b32 v4, -v4, v4, s3 :: v_dual_cndmask_b32 v7, -v7, v7, s3
	;; [unrolled: 1-line block ×3, first 2 shown]
	v_cndmask_b32_e64 v6, -v6, v6, s3
	s_wait_dscnt 0x6
	v_pk_add_f32 v[2:3], v[2:3], v[10:11]
	s_wait_dscnt 0x4
	v_pk_add_f32 v[4:5], v[4:5], v[12:13]
	;; [unrolled: 2-line block ×4, first 2 shown]
	ds_store_b128 v18, v[2:5]
	ds_store_b128 v18, v[6:9] offset:2048
	s_wait_dscnt 0x0
	s_barrier_signal -1
	s_barrier_wait -1
	s_and_saveexec_b32 s2, vcc_lo
	s_cbranch_execz .LBB20_4
; %bb.3:
	s_load_b96 s[8:10], s[0:1], 0x18
	ds_load_b128 v[2:5], v1
	ds_load_b128 v[6:9], v1 offset:2048
	s_wait_xcnt 0x0
	s_load_b64 s[0:1], s[0:1], 0x30
	s_wait_kmcnt 0x0
	s_mov_b32 s2, s10
	s_wait_dscnt 0x1
	v_pk_mul_f32 v[4:5], s[2:3], v[4:5] op_sel_hi:[0,1]
	v_pk_mul_f32 v[10:11], s[2:3], v[2:3] op_sel_hi:[0,1]
	s_wait_dscnt 0x0
	v_pk_mul_f32 v[8:9], s[2:3], v[8:9] op_sel_hi:[0,1]
	v_pk_mul_f32 v[6:7], s[2:3], v[6:7] op_sel_hi:[0,1]
	s_mul_u64 s[2:3], s[8:9], s[6:7]
	v_cvt_pk_f16_f32 v3, v4, v5
	v_cvt_pk_f16_f32 v2, v10, v11
	;; [unrolled: 1-line block ×4, first 2 shown]
	s_lshl_b64 s[2:3], s[2:3], 1
	s_delay_alu instid0(SALU_CYCLE_1)
	s_add_nc_u64 s[0:1], s[0:1], s[2:3]
	global_store_b128 v0, v[2:5], s[0:1] scale_offset
.LBB20_4:
	s_endpgm
	.section	.rodata,"a",@progbits
	.p2align	6, 0x0
	.amdhsa_kernel _Z30fast_hadamard_transform_kernelI37fast_hadamard_transform_kernel_traitsILi128ELi10E6__halfEEv18HadamardParamsBase
		.amdhsa_group_segment_fixed_size 0
		.amdhsa_private_segment_fixed_size 0
		.amdhsa_kernarg_size 56
		.amdhsa_user_sgpr_count 2
		.amdhsa_user_sgpr_dispatch_ptr 0
		.amdhsa_user_sgpr_queue_ptr 0
		.amdhsa_user_sgpr_kernarg_segment_ptr 1
		.amdhsa_user_sgpr_dispatch_id 0
		.amdhsa_user_sgpr_kernarg_preload_length 0
		.amdhsa_user_sgpr_kernarg_preload_offset 0
		.amdhsa_user_sgpr_private_segment_size 0
		.amdhsa_wavefront_size32 1
		.amdhsa_uses_dynamic_stack 0
		.amdhsa_enable_private_segment 0
		.amdhsa_system_sgpr_workgroup_id_x 1
		.amdhsa_system_sgpr_workgroup_id_y 0
		.amdhsa_system_sgpr_workgroup_id_z 0
		.amdhsa_system_sgpr_workgroup_info 0
		.amdhsa_system_vgpr_workitem_id 0
		.amdhsa_next_free_vgpr 25
		.amdhsa_next_free_sgpr 11
		.amdhsa_named_barrier_count 0
		.amdhsa_reserve_vcc 1
		.amdhsa_float_round_mode_32 0
		.amdhsa_float_round_mode_16_64 0
		.amdhsa_float_denorm_mode_32 3
		.amdhsa_float_denorm_mode_16_64 3
		.amdhsa_fp16_overflow 0
		.amdhsa_memory_ordered 1
		.amdhsa_forward_progress 1
		.amdhsa_inst_pref_size 16
		.amdhsa_round_robin_scheduling 0
		.amdhsa_exception_fp_ieee_invalid_op 0
		.amdhsa_exception_fp_denorm_src 0
		.amdhsa_exception_fp_ieee_div_zero 0
		.amdhsa_exception_fp_ieee_overflow 0
		.amdhsa_exception_fp_ieee_underflow 0
		.amdhsa_exception_fp_ieee_inexact 0
		.amdhsa_exception_int_div_zero 0
	.end_amdhsa_kernel
	.section	.text._Z30fast_hadamard_transform_kernelI37fast_hadamard_transform_kernel_traitsILi128ELi10E6__halfEEv18HadamardParamsBase,"axG",@progbits,_Z30fast_hadamard_transform_kernelI37fast_hadamard_transform_kernel_traitsILi128ELi10E6__halfEEv18HadamardParamsBase,comdat
.Lfunc_end20:
	.size	_Z30fast_hadamard_transform_kernelI37fast_hadamard_transform_kernel_traitsILi128ELi10E6__halfEEv18HadamardParamsBase, .Lfunc_end20-_Z30fast_hadamard_transform_kernelI37fast_hadamard_transform_kernel_traitsILi128ELi10E6__halfEEv18HadamardParamsBase
                                        ; -- End function
	.set _Z30fast_hadamard_transform_kernelI37fast_hadamard_transform_kernel_traitsILi128ELi10E6__halfEEv18HadamardParamsBase.num_vgpr, 25
	.set _Z30fast_hadamard_transform_kernelI37fast_hadamard_transform_kernel_traitsILi128ELi10E6__halfEEv18HadamardParamsBase.num_agpr, 0
	.set _Z30fast_hadamard_transform_kernelI37fast_hadamard_transform_kernel_traitsILi128ELi10E6__halfEEv18HadamardParamsBase.numbered_sgpr, 11
	.set _Z30fast_hadamard_transform_kernelI37fast_hadamard_transform_kernel_traitsILi128ELi10E6__halfEEv18HadamardParamsBase.num_named_barrier, 0
	.set _Z30fast_hadamard_transform_kernelI37fast_hadamard_transform_kernel_traitsILi128ELi10E6__halfEEv18HadamardParamsBase.private_seg_size, 0
	.set _Z30fast_hadamard_transform_kernelI37fast_hadamard_transform_kernel_traitsILi128ELi10E6__halfEEv18HadamardParamsBase.uses_vcc, 1
	.set _Z30fast_hadamard_transform_kernelI37fast_hadamard_transform_kernel_traitsILi128ELi10E6__halfEEv18HadamardParamsBase.uses_flat_scratch, 0
	.set _Z30fast_hadamard_transform_kernelI37fast_hadamard_transform_kernel_traitsILi128ELi10E6__halfEEv18HadamardParamsBase.has_dyn_sized_stack, 0
	.set _Z30fast_hadamard_transform_kernelI37fast_hadamard_transform_kernel_traitsILi128ELi10E6__halfEEv18HadamardParamsBase.has_recursion, 0
	.set _Z30fast_hadamard_transform_kernelI37fast_hadamard_transform_kernel_traitsILi128ELi10E6__halfEEv18HadamardParamsBase.has_indirect_call, 0
	.section	.AMDGPU.csdata,"",@progbits
; Kernel info:
; codeLenInByte = 1996
; TotalNumSgprs: 13
; NumVgprs: 25
; ScratchSize: 0
; MemoryBound: 0
; FloatMode: 240
; IeeeMode: 1
; LDSByteSize: 0 bytes/workgroup (compile time only)
; SGPRBlocks: 0
; VGPRBlocks: 1
; NumSGPRsForWavesPerEU: 13
; NumVGPRsForWavesPerEU: 25
; NamedBarCnt: 0
; Occupancy: 16
; WaveLimiterHint : 0
; COMPUTE_PGM_RSRC2:SCRATCH_EN: 0
; COMPUTE_PGM_RSRC2:USER_SGPR: 2
; COMPUTE_PGM_RSRC2:TRAP_HANDLER: 0
; COMPUTE_PGM_RSRC2:TGID_X_EN: 1
; COMPUTE_PGM_RSRC2:TGID_Y_EN: 0
; COMPUTE_PGM_RSRC2:TGID_Z_EN: 0
; COMPUTE_PGM_RSRC2:TIDIG_COMP_CNT: 0
	.section	.text._Z30fast_hadamard_transform_kernelI37fast_hadamard_transform_kernel_traitsILi256ELi11E6__halfEEv18HadamardParamsBase,"axG",@progbits,_Z30fast_hadamard_transform_kernelI37fast_hadamard_transform_kernel_traitsILi256ELi11E6__halfEEv18HadamardParamsBase,comdat
	.protected	_Z30fast_hadamard_transform_kernelI37fast_hadamard_transform_kernel_traitsILi256ELi11E6__halfEEv18HadamardParamsBase ; -- Begin function _Z30fast_hadamard_transform_kernelI37fast_hadamard_transform_kernel_traitsILi256ELi11E6__halfEEv18HadamardParamsBase
	.globl	_Z30fast_hadamard_transform_kernelI37fast_hadamard_transform_kernel_traitsILi256ELi11E6__halfEEv18HadamardParamsBase
	.p2align	8
	.type	_Z30fast_hadamard_transform_kernelI37fast_hadamard_transform_kernel_traitsILi256ELi11E6__halfEEv18HadamardParamsBase,@function
_Z30fast_hadamard_transform_kernelI37fast_hadamard_transform_kernel_traitsILi256ELi11E6__halfEEv18HadamardParamsBase: ; @_Z30fast_hadamard_transform_kernelI37fast_hadamard_transform_kernel_traitsILi256ELi11E6__halfEEv18HadamardParamsBase
; %bb.0:
	s_load_b32 s2, s[0:1], 0x4
	s_bfe_u32 s4, ttmp6, 0x4000c
	v_dual_mov_b32 v2, 0 :: v_dual_lshlrev_b32 v1, 3, v0
	s_add_co_i32 s4, s4, 1
	s_and_b32 s3, ttmp6, 15
	s_mul_i32 s4, ttmp9, s4
	s_getreg_b32 s5, hwreg(HW_REG_IB_STS2, 6, 4)
	s_add_co_i32 s3, s3, s4
	s_cmp_eq_u32 s5, 0
	v_dual_mov_b32 v3, v2 :: v_dual_mov_b32 v4, v2
	v_dual_mov_b32 v5, v2 :: v_dual_mov_b32 v6, v2
	;; [unrolled: 1-line block ×3, first 2 shown]
	v_mov_b32_e32 v9, v2
	s_cselect_b32 s6, ttmp9, s3
	s_delay_alu instid0(SALU_CYCLE_1)
	s_ashr_i32 s7, s6, 31
	s_wait_kmcnt 0x0
	v_cmp_gt_u32_e32 vcc_lo, s2, v1
	s_and_saveexec_b32 s2, vcc_lo
	s_cbranch_execz .LBB21_2
; %bb.1:
	s_clause 0x1
	s_load_b64 s[4:5], s[0:1], 0x10
	s_load_b64 s[8:9], s[0:1], 0x28
	s_wait_kmcnt 0x0
	s_mul_u64 s[4:5], s[4:5], s[6:7]
	s_delay_alu instid0(SALU_CYCLE_1) | instskip(NEXT) | instid1(SALU_CYCLE_1)
	s_lshl_b64 s[4:5], s[4:5], 1
	s_add_nc_u64 s[4:5], s[8:9], s[4:5]
	global_load_b128 v[10:13], v0, s[4:5] scale_offset
	s_wait_loadcnt 0x0
	v_cvt_f32_f16_e32 v8, v10
	v_dual_lshrrev_b32 v1, 16, v10 :: v_dual_lshrrev_b32 v3, 16, v11
	v_dual_lshrrev_b32 v5, 16, v12 :: v_dual_lshrrev_b32 v10, 16, v13
	v_cvt_f32_f16_e32 v6, v11
	v_cvt_f32_f16_e32 v4, v12
	;; [unrolled: 1-line block ×7, first 2 shown]
.LBB21_2:
	s_or_b32 exec_lo, exec_lo, s2
	v_mbcnt_lo_u32_b32 v1, -1, 0
	v_pk_add_f32 v[10:11], v[8:9], v[8:9] op_sel_hi:[0,1] neg_lo:[0,1] neg_hi:[0,1]
	v_add_f32_e32 v10, v8, v9
	v_pk_add_f32 v[8:9], v[6:7], v[6:7] op_sel_hi:[0,1] neg_lo:[0,1] neg_hi:[0,1]
	v_add_f32_e32 v8, v6, v7
	;; [unrolled: 2-line block ×3, first 2 shown]
	v_xor_b32_e32 v4, 1, v1
	v_pk_add_f32 v[12:13], v[2:3], v[2:3] op_sel_hi:[0,1] neg_lo:[0,1] neg_hi:[0,1]
	v_add_f32_e32 v12, v2, v3
	v_pk_add_f32 v[2:3], v[8:9], v[10:11]
	v_pk_add_f32 v[8:9], v[10:11], v[8:9] neg_lo:[0,1] neg_hi:[0,1]
	v_cmp_gt_i32_e64 s2, 32, v4
	s_barrier_signal -1
	s_barrier_wait -1
	s_delay_alu instid0(VALU_DEP_1) | instskip(SKIP_2) | instid1(VALU_DEP_2)
	v_cndmask_b32_e64 v14, v1, v4, s2
	v_pk_add_f32 v[4:5], v[12:13], v[6:7]
	v_pk_add_f32 v[6:7], v[6:7], v[12:13] neg_lo:[0,1] neg_hi:[0,1]
	v_dual_sub_f32 v15, v3, v5 :: v_dual_bitop2_b32 v16, 1, v0 bitop3:0x40
	s_delay_alu instid0(VALU_DEP_2) | instskip(NEXT) | instid1(VALU_DEP_2)
	v_sub_f32_e32 v18, v8, v6
	v_cmp_eq_u32_e64 s2, 0, v16
	v_dual_lshlrev_b32 v22, 2, v14 :: v_dual_bitop2_b32 v19, 2, v1 bitop3:0x14
	v_dual_sub_f32 v14, v2, v4 :: v_dual_sub_f32 v17, v9, v7
	v_pk_add_f32 v[2:3], v[4:5], v[2:3]
	v_pk_add_f32 v[4:5], v[6:7], v[8:9]
	v_cndmask_b32_e64 v7, -v15, v15, s2
	v_cmp_gt_i32_e64 s3, 32, v19
	ds_bpermute_b32 v10, v22, v14
	ds_bpermute_b32 v11, v22, v15
	;; [unrolled: 1-line block ×4, first 2 shown]
	v_dual_cndmask_b32 v16, v1, v19, s3 :: v_dual_cndmask_b32 v6, -v14, v14, s2
	ds_bpermute_b32 v8, v22, v2
	ds_bpermute_b32 v9, v22, v3
	;; [unrolled: 1-line block ×4, first 2 shown]
	v_dual_lshlrev_b32 v23, 2, v16 :: v_dual_cndmask_b32 v17, -v17, v17, s2
	v_dual_cndmask_b32 v16, -v18, v18, s2 :: v_dual_bitop2_b32 v18, 2, v0 bitop3:0x40
	v_dual_cndmask_b32 v3, -v3, v3, s2 :: v_dual_cndmask_b32 v2, -v2, v2, s2
	v_dual_cndmask_b32 v5, -v5, v5, s2 :: v_dual_cndmask_b32 v4, -v4, v4, s2
	s_delay_alu instid0(VALU_DEP_3)
	v_cmp_eq_u32_e64 s3, 0, v18
	v_and_b32_e32 v19, 4, v0
	s_wait_dscnt 0x6
	v_pk_add_f32 v[6:7], v[6:7], v[10:11]
	v_xor_b32_e32 v18, 4, v1
	s_wait_dscnt 0x4
	v_pk_add_f32 v[10:11], v[16:17], v[12:13]
	ds_bpermute_b32 v12, v23, v6
	s_wait_dscnt 0x3
	v_pk_add_f32 v[2:3], v[2:3], v[8:9]
	ds_bpermute_b32 v13, v23, v7
	;; [unrolled: 3-line block ×3, first 2 shown]
	ds_bpermute_b32 v17, v23, v11
	ds_bpermute_b32 v8, v23, v2
	;; [unrolled: 1-line block ×5, first 2 shown]
	v_cndmask_b32_e64 v7, -v7, v7, s3
	v_cmp_gt_i32_e64 s4, 32, v18
	v_dual_cndmask_b32 v11, -v11, v11, s3 :: v_dual_cndmask_b32 v10, -v10, v10, s3
	v_dual_cndmask_b32 v6, -v6, v6, s3 :: v_dual_cndmask_b32 v3, -v3, v3, s3
	s_delay_alu instid0(VALU_DEP_3) | instskip(SKIP_1) | instid1(VALU_DEP_2)
	v_cndmask_b32_e64 v18, v1, v18, s4
	v_dual_cndmask_b32 v2, -v2, v2, s3 :: v_dual_cndmask_b32 v5, -v5, v5, s3
	v_dual_lshlrev_b32 v24, 2, v18 :: v_dual_bitop2_b32 v18, 8, v1 bitop3:0x14
	s_wait_dscnt 0x6
	v_pk_add_f32 v[6:7], v[6:7], v[12:13]
	s_wait_dscnt 0x4
	v_pk_add_f32 v[10:11], v[10:11], v[16:17]
	v_cmp_gt_i32_e64 s4, 32, v18
	v_cndmask_b32_e64 v4, -v4, v4, s3
	s_wait_dscnt 0x2
	v_pk_add_f32 v[2:3], v[2:3], v[8:9]
	ds_bpermute_b32 v12, v24, v6
	ds_bpermute_b32 v13, v24, v7
	v_cndmask_b32_e64 v18, v1, v18, s4
	s_wait_dscnt 0x2
	v_pk_add_f32 v[4:5], v[4:5], v[14:15]
	ds_bpermute_b32 v8, v24, v10
	ds_bpermute_b32 v9, v24, v11
	;; [unrolled: 1-line block ×6, first 2 shown]
	v_cmp_eq_u32_e64 s4, 0, v19
	v_dual_lshlrev_b32 v18, 2, v18 :: v_dual_bitop2_b32 v19, 16, v1 bitop3:0x14
	s_delay_alu instid0(VALU_DEP_2) | instskip(NEXT) | instid1(VALU_DEP_2)
	v_dual_cndmask_b32 v7, -v7, v7, s4 :: v_dual_bitop2_b32 v20, 8, v0 bitop3:0x40
	v_cmp_gt_i32_e64 s5, 32, v19
	v_dual_cndmask_b32 v6, -v6, v6, s4 :: v_dual_cndmask_b32 v11, -v11, v11, s4
	v_dual_cndmask_b32 v10, -v10, v10, s4 :: v_dual_cndmask_b32 v3, -v3, v3, s4
	;; [unrolled: 1-line block ×3, first 2 shown]
	s_delay_alu instid0(VALU_DEP_4)
	v_dual_cndmask_b32 v4, -v4, v4, s4 :: v_dual_cndmask_b32 v1, v1, v19, s5
	s_wait_dscnt 0x6
	v_pk_add_f32 v[6:7], v[6:7], v[12:13]
	s_wait_dscnt 0x4
	v_pk_add_f32 v[8:9], v[10:11], v[8:9]
	;; [unrolled: 2-line block ×3, first 2 shown]
	v_cmp_eq_u32_e64 s5, 0, v20
	s_wait_dscnt 0x0
	v_pk_add_f32 v[4:5], v[4:5], v[16:17]
	ds_bpermute_b32 v10, v18, v6
	ds_bpermute_b32 v11, v18, v7
	;; [unrolled: 1-line block ×8, first 2 shown]
	v_dual_cndmask_b32 v7, -v7, v7, s5 :: v_dual_cndmask_b32 v6, -v6, v6, s5
	v_dual_cndmask_b32 v9, -v9, v9, s5 :: v_dual_cndmask_b32 v8, -v8, v8, s5
	;; [unrolled: 1-line block ×4, first 2 shown]
	v_dual_lshlrev_b32 v1, 2, v1 :: v_dual_bitop2_b32 v18, 16, v0 bitop3:0x40
	v_dual_lshrrev_b32 v19, 5, v0 :: v_dual_bitop2_b32 v20, 7, v0 bitop3:0x40
	v_lshrrev_b32_e32 v21, 3, v0
	s_wait_dscnt 0x6
	v_pk_add_f32 v[6:7], v[6:7], v[10:11]
	v_cmp_eq_u32_e64 s5, 0, v18
	s_wait_dscnt 0x4
	v_pk_add_f32 v[8:9], v[8:9], v[12:13]
	s_wait_dscnt 0x2
	v_pk_add_f32 v[2:3], v[2:3], v[14:15]
	ds_bpermute_b32 v10, v1, v6
	s_wait_dscnt 0x1
	v_pk_add_f32 v[4:5], v[4:5], v[16:17]
	ds_bpermute_b32 v12, v1, v8
	ds_bpermute_b32 v13, v1, v9
	ds_bpermute_b32 v14, v1, v2
	ds_bpermute_b32 v15, v1, v3
	ds_bpermute_b32 v16, v1, v4
	ds_bpermute_b32 v17, v1, v5
	ds_bpermute_b32 v11, v1, v7
	v_xor_b32_e32 v1, v19, v0
	v_dual_lshlrev_b32 v19, 5, v20 :: v_dual_cndmask_b32 v9, -v9, v9, s5
	v_dual_cndmask_b32 v8, -v8, v8, s5 :: v_dual_cndmask_b32 v3, -v3, v3, s5
	v_cndmask_b32_e64 v2, -v2, v2, s5
	s_delay_alu instid0(VALU_DEP_3)
	v_bitop3_b32 v25, v19, v20, v21 bitop3:0x36
	v_dual_cndmask_b32 v19, -v7, v7, s5 :: v_dual_cndmask_b32 v21, -v5, v5, s5
	v_dual_cndmask_b32 v20, -v4, v4, s5 :: v_dual_cndmask_b32 v18, -v6, v6, s5
	v_lshl_add_u32 v1, v1, 4, 0
	s_wait_dscnt 0x5
	v_pk_add_f32 v[4:5], v[8:9], v[12:13]
	s_wait_dscnt 0x3
	v_pk_add_f32 v[6:7], v[2:3], v[14:15]
	;; [unrolled: 2-line block ×4, first 2 shown]
	v_lshl_add_u32 v18, v25, 4, 0
	ds_store_b128 v1, v[6:9]
	ds_store_b128 v1, v[2:5] offset:4096
	s_wait_dscnt 0x0
	s_barrier_signal -1
	s_barrier_wait -1
	ds_load_b128 v[2:5], v18
	ds_load_b128 v[6:9], v18 offset:4096
	s_wait_dscnt 0x0
	s_barrier_signal -1
	s_barrier_wait -1
	ds_bpermute_b32 v10, v22, v2
	ds_bpermute_b32 v11, v22, v3
	;; [unrolled: 1-line block ×8, first 2 shown]
	v_dual_cndmask_b32 v3, -v3, v3, s2 :: v_dual_cndmask_b32 v2, -v2, v2, s2
	v_dual_cndmask_b32 v5, -v5, v5, s2 :: v_dual_cndmask_b32 v4, -v4, v4, s2
	;; [unrolled: 1-line block ×3, first 2 shown]
	v_cndmask_b32_e64 v9, -v9, v9, s2
	s_wait_dscnt 0x6
	v_pk_add_f32 v[2:3], v[2:3], v[10:11]
	v_cndmask_b32_e64 v8, -v8, v8, s2
	s_wait_dscnt 0x4
	v_pk_add_f32 v[4:5], v[4:5], v[12:13]
	s_wait_dscnt 0x2
	v_pk_add_f32 v[6:7], v[6:7], v[14:15]
	ds_bpermute_b32 v10, v23, v2
	ds_bpermute_b32 v11, v23, v3
	v_cndmask_b32_e64 v3, -v3, v3, s3
	s_wait_dscnt 0x2
	v_pk_add_f32 v[8:9], v[8:9], v[16:17]
	ds_bpermute_b32 v12, v23, v4
	ds_bpermute_b32 v13, v23, v5
	;; [unrolled: 1-line block ×6, first 2 shown]
	v_dual_cndmask_b32 v2, -v2, v2, s3 :: v_dual_cndmask_b32 v5, -v5, v5, s3
	v_dual_cndmask_b32 v4, -v4, v4, s3 :: v_dual_cndmask_b32 v7, -v7, v7, s3
	;; [unrolled: 1-line block ×3, first 2 shown]
	s_wait_dscnt 0x6
	s_delay_alu instid0(VALU_DEP_3)
	v_pk_add_f32 v[2:3], v[2:3], v[10:11]
	v_cndmask_b32_e64 v6, -v6, v6, s3
	s_wait_dscnt 0x4
	v_pk_add_f32 v[4:5], v[4:5], v[12:13]
	ds_bpermute_b32 v11, v24, v3
	v_cndmask_b32_e64 v3, -v3, v3, s4
	s_wait_dscnt 0x3
	v_pk_add_f32 v[6:7], v[6:7], v[14:15]
	s_wait_dscnt 0x1
	v_pk_add_f32 v[8:9], v[8:9], v[16:17]
	ds_bpermute_b32 v10, v24, v2
	ds_bpermute_b32 v12, v24, v4
	;; [unrolled: 1-line block ×7, first 2 shown]
	v_dual_cndmask_b32 v2, -v2, v2, s4 :: v_dual_cndmask_b32 v5, -v5, v5, s4
	v_dual_cndmask_b32 v4, -v4, v4, s4 :: v_dual_cndmask_b32 v7, -v7, v7, s4
	;; [unrolled: 1-line block ×3, first 2 shown]
	v_cndmask_b32_e64 v6, -v6, v6, s4
	s_wait_dscnt 0x6
	v_pk_add_f32 v[2:3], v[2:3], v[10:11]
	s_wait_dscnt 0x4
	v_pk_add_f32 v[4:5], v[4:5], v[12:13]
	;; [unrolled: 2-line block ×4, first 2 shown]
	ds_store_b128 v18, v[2:5]
	ds_store_b128 v18, v[6:9] offset:4096
	s_wait_dscnt 0x0
	s_barrier_signal -1
	s_barrier_wait -1
	s_and_saveexec_b32 s2, vcc_lo
	s_cbranch_execz .LBB21_4
; %bb.3:
	s_load_b96 s[8:10], s[0:1], 0x18
	ds_load_b128 v[2:5], v1
	ds_load_b128 v[6:9], v1 offset:4096
	s_wait_xcnt 0x0
	s_load_b64 s[0:1], s[0:1], 0x30
	s_wait_kmcnt 0x0
	s_mov_b32 s2, s10
	s_wait_dscnt 0x1
	v_pk_mul_f32 v[4:5], s[2:3], v[4:5] op_sel_hi:[0,1]
	v_pk_mul_f32 v[10:11], s[2:3], v[2:3] op_sel_hi:[0,1]
	s_wait_dscnt 0x0
	v_pk_mul_f32 v[8:9], s[2:3], v[8:9] op_sel_hi:[0,1]
	v_pk_mul_f32 v[6:7], s[2:3], v[6:7] op_sel_hi:[0,1]
	s_mul_u64 s[2:3], s[8:9], s[6:7]
	v_cvt_pk_f16_f32 v3, v4, v5
	v_cvt_pk_f16_f32 v2, v10, v11
	;; [unrolled: 1-line block ×4, first 2 shown]
	s_lshl_b64 s[2:3], s[2:3], 1
	s_delay_alu instid0(SALU_CYCLE_1)
	s_add_nc_u64 s[0:1], s[0:1], s[2:3]
	global_store_b128 v0, v[2:5], s[0:1] scale_offset
.LBB21_4:
	s_endpgm
	.section	.rodata,"a",@progbits
	.p2align	6, 0x0
	.amdhsa_kernel _Z30fast_hadamard_transform_kernelI37fast_hadamard_transform_kernel_traitsILi256ELi11E6__halfEEv18HadamardParamsBase
		.amdhsa_group_segment_fixed_size 0
		.amdhsa_private_segment_fixed_size 0
		.amdhsa_kernarg_size 56
		.amdhsa_user_sgpr_count 2
		.amdhsa_user_sgpr_dispatch_ptr 0
		.amdhsa_user_sgpr_queue_ptr 0
		.amdhsa_user_sgpr_kernarg_segment_ptr 1
		.amdhsa_user_sgpr_dispatch_id 0
		.amdhsa_user_sgpr_kernarg_preload_length 0
		.amdhsa_user_sgpr_kernarg_preload_offset 0
		.amdhsa_user_sgpr_private_segment_size 0
		.amdhsa_wavefront_size32 1
		.amdhsa_uses_dynamic_stack 0
		.amdhsa_enable_private_segment 0
		.amdhsa_system_sgpr_workgroup_id_x 1
		.amdhsa_system_sgpr_workgroup_id_y 0
		.amdhsa_system_sgpr_workgroup_id_z 0
		.amdhsa_system_sgpr_workgroup_info 0
		.amdhsa_system_vgpr_workitem_id 0
		.amdhsa_next_free_vgpr 26
		.amdhsa_next_free_sgpr 11
		.amdhsa_named_barrier_count 0
		.amdhsa_reserve_vcc 1
		.amdhsa_float_round_mode_32 0
		.amdhsa_float_round_mode_16_64 0
		.amdhsa_float_denorm_mode_32 3
		.amdhsa_float_denorm_mode_16_64 3
		.amdhsa_fp16_overflow 0
		.amdhsa_memory_ordered 1
		.amdhsa_forward_progress 1
		.amdhsa_inst_pref_size 17
		.amdhsa_round_robin_scheduling 0
		.amdhsa_exception_fp_ieee_invalid_op 0
		.amdhsa_exception_fp_denorm_src 0
		.amdhsa_exception_fp_ieee_div_zero 0
		.amdhsa_exception_fp_ieee_overflow 0
		.amdhsa_exception_fp_ieee_underflow 0
		.amdhsa_exception_fp_ieee_inexact 0
		.amdhsa_exception_int_div_zero 0
	.end_amdhsa_kernel
	.section	.text._Z30fast_hadamard_transform_kernelI37fast_hadamard_transform_kernel_traitsILi256ELi11E6__halfEEv18HadamardParamsBase,"axG",@progbits,_Z30fast_hadamard_transform_kernelI37fast_hadamard_transform_kernel_traitsILi256ELi11E6__halfEEv18HadamardParamsBase,comdat
.Lfunc_end21:
	.size	_Z30fast_hadamard_transform_kernelI37fast_hadamard_transform_kernel_traitsILi256ELi11E6__halfEEv18HadamardParamsBase, .Lfunc_end21-_Z30fast_hadamard_transform_kernelI37fast_hadamard_transform_kernel_traitsILi256ELi11E6__halfEEv18HadamardParamsBase
                                        ; -- End function
	.set _Z30fast_hadamard_transform_kernelI37fast_hadamard_transform_kernel_traitsILi256ELi11E6__halfEEv18HadamardParamsBase.num_vgpr, 26
	.set _Z30fast_hadamard_transform_kernelI37fast_hadamard_transform_kernel_traitsILi256ELi11E6__halfEEv18HadamardParamsBase.num_agpr, 0
	.set _Z30fast_hadamard_transform_kernelI37fast_hadamard_transform_kernel_traitsILi256ELi11E6__halfEEv18HadamardParamsBase.numbered_sgpr, 11
	.set _Z30fast_hadamard_transform_kernelI37fast_hadamard_transform_kernel_traitsILi256ELi11E6__halfEEv18HadamardParamsBase.num_named_barrier, 0
	.set _Z30fast_hadamard_transform_kernelI37fast_hadamard_transform_kernel_traitsILi256ELi11E6__halfEEv18HadamardParamsBase.private_seg_size, 0
	.set _Z30fast_hadamard_transform_kernelI37fast_hadamard_transform_kernel_traitsILi256ELi11E6__halfEEv18HadamardParamsBase.uses_vcc, 1
	.set _Z30fast_hadamard_transform_kernelI37fast_hadamard_transform_kernel_traitsILi256ELi11E6__halfEEv18HadamardParamsBase.uses_flat_scratch, 0
	.set _Z30fast_hadamard_transform_kernelI37fast_hadamard_transform_kernel_traitsILi256ELi11E6__halfEEv18HadamardParamsBase.has_dyn_sized_stack, 0
	.set _Z30fast_hadamard_transform_kernelI37fast_hadamard_transform_kernel_traitsILi256ELi11E6__halfEEv18HadamardParamsBase.has_recursion, 0
	.set _Z30fast_hadamard_transform_kernelI37fast_hadamard_transform_kernel_traitsILi256ELi11E6__halfEEv18HadamardParamsBase.has_indirect_call, 0
	.section	.AMDGPU.csdata,"",@progbits
; Kernel info:
; codeLenInByte = 2172
; TotalNumSgprs: 13
; NumVgprs: 26
; ScratchSize: 0
; MemoryBound: 0
; FloatMode: 240
; IeeeMode: 1
; LDSByteSize: 0 bytes/workgroup (compile time only)
; SGPRBlocks: 0
; VGPRBlocks: 1
; NumSGPRsForWavesPerEU: 13
; NumVGPRsForWavesPerEU: 26
; NamedBarCnt: 0
; Occupancy: 16
; WaveLimiterHint : 0
; COMPUTE_PGM_RSRC2:SCRATCH_EN: 0
; COMPUTE_PGM_RSRC2:USER_SGPR: 2
; COMPUTE_PGM_RSRC2:TRAP_HANDLER: 0
; COMPUTE_PGM_RSRC2:TGID_X_EN: 1
; COMPUTE_PGM_RSRC2:TGID_Y_EN: 0
; COMPUTE_PGM_RSRC2:TGID_Z_EN: 0
; COMPUTE_PGM_RSRC2:TIDIG_COMP_CNT: 0
	.section	.text._Z30fast_hadamard_transform_kernelI37fast_hadamard_transform_kernel_traitsILi256ELi12E6__halfEEv18HadamardParamsBase,"axG",@progbits,_Z30fast_hadamard_transform_kernelI37fast_hadamard_transform_kernel_traitsILi256ELi12E6__halfEEv18HadamardParamsBase,comdat
	.protected	_Z30fast_hadamard_transform_kernelI37fast_hadamard_transform_kernel_traitsILi256ELi12E6__halfEEv18HadamardParamsBase ; -- Begin function _Z30fast_hadamard_transform_kernelI37fast_hadamard_transform_kernel_traitsILi256ELi12E6__halfEEv18HadamardParamsBase
	.globl	_Z30fast_hadamard_transform_kernelI37fast_hadamard_transform_kernel_traitsILi256ELi12E6__halfEEv18HadamardParamsBase
	.p2align	8
	.type	_Z30fast_hadamard_transform_kernelI37fast_hadamard_transform_kernel_traitsILi256ELi12E6__halfEEv18HadamardParamsBase,@function
_Z30fast_hadamard_transform_kernelI37fast_hadamard_transform_kernel_traitsILi256ELi12E6__halfEEv18HadamardParamsBase: ; @_Z30fast_hadamard_transform_kernelI37fast_hadamard_transform_kernel_traitsILi256ELi12E6__halfEEv18HadamardParamsBase
; %bb.0:
	s_clause 0x3
	s_load_b128 s[4:7], s[0:1], 0x10
	s_load_b32 s14, s[0:1], 0x4
	s_load_b128 s[8:11], s[0:1], 0x28
	s_load_b32 s15, s[0:1], 0x44
	s_bfe_u32 s3, ttmp6, 0x4000c
	s_and_b32 s2, ttmp6, 15
	s_add_co_i32 s3, s3, 1
	s_getreg_b32 s12, hwreg(HW_REG_IB_STS2, 6, 4)
	s_mul_i32 s3, ttmp9, s3
	v_dual_mov_b32 v11, 0 :: v_dual_lshlrev_b32 v1, 3, v0
	s_add_co_i32 s2, s2, s3
	s_cmp_eq_u32 s12, 0
	v_dual_mov_b32 v2, 0 :: v_dual_mov_b32 v10, 0
	s_cselect_b32 s12, ttmp9, s2
	v_dual_mov_b32 v12, 0 :: v_dual_mov_b32 v13, 0
	s_ashr_i32 s13, s12, 31
	v_dual_mov_b32 v14, 0 :: v_dual_mov_b32 v15, 0
	s_wait_kmcnt 0x0
	s_mul_u64 s[2:3], s[4:5], s[12:13]
	v_cmp_gt_u32_e32 vcc_lo, s14, v1
	v_dual_mov_b32 v16, 0 :: v_dual_mov_b32 v17, 0
	s_lshl_b64 s[2:3], s[2:3], 1
	s_delay_alu instid0(SALU_CYCLE_1)
	s_add_nc_u64 s[2:3], s[8:9], s[2:3]
	s_and_saveexec_b32 s4, vcc_lo
	s_cbranch_execz .LBB22_2
; %bb.1:
	global_load_b128 v[4:7], v0, s[2:3] scale_offset
	s_wait_loadcnt 0x0
	v_cvt_f32_f16_e32 v16, v4
	v_dual_lshrrev_b32 v1, 16, v4 :: v_dual_lshrrev_b32 v3, 16, v5
	v_cvt_f32_f16_e32 v14, v5
	v_dual_lshrrev_b32 v4, 16, v6 :: v_dual_lshrrev_b32 v5, 16, v7
	v_cvt_f32_f16_e32 v12, v6
	v_cvt_f32_f16_e32 v10, v7
	;; [unrolled: 1-line block ×6, first 2 shown]
.LBB22_2:
	s_or_b32 exec_lo, exec_lo, s4
	s_load_b32 s8, s[0:1], 0x20
	s_and_b32 s4, 0xffff, s15
	s_delay_alu instid0(SALU_CYCLE_1) | instskip(SKIP_2) | instid1(VALU_DEP_3)
	v_dual_mov_b32 v3, 0 :: v_dual_add_nc_u32 v1, s4, v0
	v_dual_mov_b32 v5, 0 :: v_dual_mov_b32 v7, 0
	v_dual_mov_b32 v8, 0 :: v_dual_mov_b32 v4, 0
	v_dual_mov_b32 v9, 0 :: v_dual_lshlrev_b32 v6, 3, v1
	s_wait_xcnt 0x0
	s_delay_alu instid0(VALU_DEP_1)
	v_cmp_gt_u32_e64 s0, s14, v6
	v_mov_b32_e32 v6, 0
	s_and_saveexec_b32 s1, s0
	s_cbranch_execz .LBB22_4
; %bb.3:
	global_load_b128 v[18:21], v1, s[2:3] scale_offset
	s_wait_loadcnt 0x0
	v_cvt_f32_f16_e32 v8, v18
	v_dual_lshrrev_b32 v3, 16, v18 :: v_dual_lshrrev_b32 v5, 16, v19
	v_cvt_f32_f16_e32 v6, v19
	v_dual_lshrrev_b32 v18, 16, v20 :: v_dual_lshrrev_b32 v19, 16, v21
	v_cvt_f32_f16_e32 v4, v20
	v_cvt_f32_f16_e32 v2, v21
	;; [unrolled: 1-line block ×6, first 2 shown]
.LBB22_4:
	s_or_b32 exec_lo, exec_lo, s1
	v_mbcnt_lo_u32_b32 v28, -1, 0
	v_pk_add_f32 v[18:19], v[16:17], v[16:17] op_sel_hi:[0,1] neg_lo:[0,1] neg_hi:[0,1]
	v_add_f32_e32 v18, v16, v17
	v_pk_add_f32 v[16:17], v[14:15], v[14:15] op_sel_hi:[0,1] neg_lo:[0,1] neg_hi:[0,1]
	v_add_f32_e32 v16, v14, v15
	v_pk_add_f32 v[14:15], v[12:13], v[12:13] op_sel_hi:[0,1] neg_lo:[0,1] neg_hi:[0,1]
	v_dual_add_f32 v14, v12, v13 :: v_dual_bitop2_b32 v12, 1, v28 bitop3:0x14
	v_pk_add_f32 v[20:21], v[10:11], v[10:11] op_sel_hi:[0,1] neg_lo:[0,1] neg_hi:[0,1]
	v_xor_b32_e32 v29, 4, v28
	s_barrier_signal -1
	s_delay_alu instid0(VALU_DEP_3)
	v_cmp_gt_i32_e64 s1, 32, v12
	v_add_f32_e32 v20, v10, v11
	v_pk_add_f32 v[10:11], v[16:17], v[18:19]
	v_pk_add_f32 v[16:17], v[18:19], v[16:17] neg_lo:[0,1] neg_hi:[0,1]
	s_barrier_wait -1
	v_cndmask_b32_e64 v22, v28, v12, s1
	v_pk_add_f32 v[12:13], v[20:21], v[14:15]
	v_pk_add_f32 v[14:15], v[14:15], v[20:21] neg_lo:[0,1] neg_hi:[0,1]
	v_and_b32_e32 v25, 1, v0
	s_delay_alu instid0(VALU_DEP_3) | instskip(NEXT) | instid1(VALU_DEP_3)
	v_dual_lshlrev_b32 v40, 2, v22 :: v_dual_sub_f32 v22, v10, v12
	v_dual_sub_f32 v23, v11, v13 :: v_dual_sub_f32 v24, v17, v15
	s_delay_alu instid0(VALU_DEP_4) | instskip(NEXT) | instid1(VALU_DEP_4)
	v_sub_f32_e32 v26, v16, v14
	v_cmp_eq_u32_e64 s3, 0, v25
	ds_bpermute_b32 v18, v40, v22
	ds_bpermute_b32 v19, v40, v23
	;; [unrolled: 1-line block ×4, first 2 shown]
	v_dual_cndmask_b32 v23, -v23, v23, s3 :: v_dual_bitop2_b32 v27, 2, v28 bitop3:0x14
	v_pk_add_f32 v[14:15], v[14:15], v[16:17]
	v_cndmask_b32_e64 v22, -v22, v22, s3
	s_wait_kmcnt 0x0
	s_mov_b32 s9, s8
	v_cmp_gt_i32_e64 s1, 32, v27
	v_dual_lshrrev_b32 v33, 3, v0 :: v_dual_lshrrev_b32 v30, 5, v0
	s_delay_alu instid0(VALU_DEP_2) | instskip(NEXT) | instid1(VALU_DEP_1)
	v_cndmask_b32_e64 v25, v28, v27, s1
	v_dual_lshlrev_b32 v41, 2, v25 :: v_dual_cndmask_b32 v25, -v24, v24, s3
	v_cndmask_b32_e64 v24, -v26, v26, s3
	s_wait_dscnt 0x2
	v_pk_add_f32 v[18:19], v[22:23], v[18:19]
	v_add_f32_e32 v22, v8, v9
	v_pk_add_f32 v[8:9], v[8:9], v[8:9] op_sel_hi:[0,1] neg_lo:[0,1] neg_hi:[0,1]
	v_dual_add_f32 v8, v6, v7 :: v_dual_bitop2_b32 v23, 2, v0 bitop3:0x40
	s_wait_dscnt 0x0
	v_pk_add_f32 v[20:21], v[24:25], v[20:21]
	v_pk_add_f32 v[6:7], v[6:7], v[6:7] op_sel_hi:[0,1] neg_lo:[0,1] neg_hi:[0,1]
	ds_bpermute_b32 v24, v41, v18
	ds_bpermute_b32 v25, v41, v19
	v_add_f32_e32 v6, v4, v5
	ds_bpermute_b32 v26, v41, v20
	ds_bpermute_b32 v27, v41, v21
	v_cmp_gt_i32_e64 s1, 32, v29
	v_cmp_eq_u32_e64 s2, 0, v23
	v_pk_add_f32 v[4:5], v[4:5], v[4:5] op_sel_hi:[0,1] neg_lo:[0,1] neg_hi:[0,1]
	v_add_f32_e32 v4, v2, v3
	v_pk_add_f32 v[2:3], v[2:3], v[2:3] op_sel_hi:[0,1] neg_lo:[0,1] neg_hi:[0,1]
	v_cndmask_b32_e64 v23, v28, v29, s1
	v_dual_cndmask_b32 v21, -v21, v21, s2 :: v_dual_cndmask_b32 v20, -v20, v20, s2
	v_dual_cndmask_b32 v19, -v19, v19, s2 :: v_dual_cndmask_b32 v18, -v18, v18, s2
	s_delay_alu instid0(VALU_DEP_3)
	v_dual_lshlrev_b32 v42, 2, v23 :: v_dual_bitop2_b32 v2, 4, v0 bitop3:0x40
	v_dual_mov_b32 v23, v9 :: v_dual_bitop2_b32 v31, 7, v0 bitop3:0x40
	v_dual_mov_b32 v9, v7 :: v_dual_mov_b32 v7, v5
	s_wait_dscnt 0x2
	v_pk_add_f32 v[18:19], v[18:19], v[24:25]
	v_cmp_eq_u32_e64 s1, 0, v2
	v_xor_b32_e32 v34, 8, v28
	s_wait_dscnt 0x0
	v_pk_add_f32 v[20:21], v[20:21], v[26:27]
	v_mov_b32_e32 v5, v3
	ds_bpermute_b32 v25, v42, v19
	v_cndmask_b32_e64 v19, -v19, v19, s1
	v_cmp_gt_i32_e64 s4, 32, v34
	ds_bpermute_b32 v26, v42, v20
	ds_bpermute_b32 v27, v42, v21
	v_and_b32_e32 v32, 16, v0
	ds_bpermute_b32 v24, v42, v18
	v_cndmask_b32_e64 v2, v28, v34, s4
	v_dual_cndmask_b32 v18, -v18, v18, s1 :: v_dual_cndmask_b32 v21, -v21, v21, s1
	v_cndmask_b32_e64 v20, -v20, v20, s1
	s_delay_alu instid0(VALU_DEP_3) | instskip(SKIP_2) | instid1(VALU_DEP_3)
	v_dual_lshlrev_b32 v34, 2, v2 :: v_dual_bitop2_b32 v29, 8, v0 bitop3:0x40
	v_pk_add_f32 v[2:3], v[12:13], v[10:11]
	v_xor_b32_e32 v35, 16, v28
	v_cmp_eq_u32_e64 s4, 0, v29
	ds_bpermute_b32 v16, v40, v2
	ds_bpermute_b32 v17, v40, v3
	v_dual_cndmask_b32 v3, -v3, v3, s3 :: v_dual_cndmask_b32 v2, -v2, v2, s3
	s_wait_dscnt 0x3
	v_pk_add_f32 v[10:11], v[20:21], v[26:27]
	v_lshlrev_b32_e32 v27, 5, v31
	v_cmp_gt_i32_e64 s5, 32, v35
	v_xor_b32_e32 v26, v30, v0
	s_wait_dscnt 0x2
	v_pk_add_f32 v[18:19], v[18:19], v[24:25]
	ds_bpermute_b32 v20, v34, v10
	ds_bpermute_b32 v21, v34, v11
	v_dual_cndmask_b32 v28, v28, v35, s5 :: v_dual_cndmask_b32 v10, -v10, v10, s4
	ds_bpermute_b32 v24, v40, v14
	ds_bpermute_b32 v25, v40, v15
	v_dual_cndmask_b32 v11, -v11, v11, s4 :: v_dual_lshlrev_b32 v45, 2, v28
	v_cndmask_b32_e64 v15, -v15, v15, s3
	v_lshl_add_u32 v43, v26, 4, 0
	s_wait_dscnt 0x4
	v_pk_add_f32 v[2:3], v[2:3], v[16:17]
	v_bitop3_b32 v44, v27, v31, v33 bitop3:0x36
	v_pk_add_f32 v[26:27], v[8:9], v[22:23]
	v_pk_add_f32 v[28:29], v[4:5], v[6:7]
	ds_bpermute_b32 v12, v34, v18
	ds_bpermute_b32 v13, v34, v19
	v_cndmask_b32_e64 v14, -v14, v14, s3
	v_pk_add_f32 v[8:9], v[22:23], v[8:9] neg_lo:[0,1] neg_hi:[0,1]
	v_pk_add_f32 v[4:5], v[6:7], v[4:5] neg_lo:[0,1] neg_hi:[0,1]
	v_dual_sub_f32 v30, v26, v28 :: v_dual_sub_f32 v31, v27, v29
	s_wait_dscnt 0x4
	v_pk_add_f32 v[10:11], v[10:11], v[20:21]
	ds_bpermute_b32 v20, v41, v2
	ds_bpermute_b32 v21, v41, v3
	v_cndmask_b32_e64 v3, -v3, v3, s2
	s_wait_dscnt 0x4
	v_pk_add_f32 v[14:15], v[14:15], v[24:25]
	v_dual_sub_f32 v33, v8, v4 :: v_dual_sub_f32 v35, v9, v5
	v_cndmask_b32_e64 v2, -v2, v2, s2
	ds_bpermute_b32 v6, v40, v30
	ds_bpermute_b32 v7, v40, v31
	v_pk_add_f32 v[26:27], v[28:29], v[26:27]
	v_pk_add_f32 v[4:5], v[4:5], v[8:9]
	ds_bpermute_b32 v24, v41, v14
	ds_bpermute_b32 v25, v41, v15
	;; [unrolled: 1-line block ×4, first 2 shown]
	v_dual_cndmask_b32 v15, -v15, v15, s2 :: v_dual_cndmask_b32 v14, -v14, v14, s2
	ds_bpermute_b32 v28, v40, v26
	ds_bpermute_b32 v29, v40, v27
	v_dual_cndmask_b32 v19, -v19, v19, s4 :: v_dual_cndmask_b32 v18, -v18, v18, s4
	s_wait_dscnt 0x8
	v_pk_add_f32 v[2:3], v[2:3], v[20:21]
	v_dual_cndmask_b32 v21, -v31, v31, s3 :: v_dual_cndmask_b32 v20, -v30, v30, s3
	v_cndmask_b32_e64 v9, -v35, v35, s3
	ds_bpermute_b32 v30, v40, v4
	ds_bpermute_b32 v31, v40, v5
	v_pk_add_f32 v[12:13], v[18:19], v[12:13]
	v_cmp_eq_u32_e64 s5, 0, v32
	v_dual_cndmask_b32 v8, -v33, v33, s3 :: v_dual_cndmask_b32 v27, -v27, v27, s3
	s_wait_dscnt 0x8
	v_pk_add_f32 v[6:7], v[20:21], v[6:7]
	ds_bpermute_b32 v17, v45, v13
	v_dual_cndmask_b32 v13, -v13, v13, s5 :: v_dual_cndmask_b32 v26, -v26, v26, s3
	v_dual_cndmask_b32 v5, -v5, v5, s3 :: v_dual_cndmask_b32 v4, -v4, v4, s3
	s_wait_dscnt 0x7
	v_pk_add_f32 v[14:15], v[14:15], v[24:25]
	ds_bpermute_b32 v24, v42, v2
	s_wait_dscnt 0x6
	v_pk_add_f32 v[8:9], v[8:9], v[22:23]
	ds_bpermute_b32 v25, v42, v3
	ds_bpermute_b32 v22, v41, v6
	;; [unrolled: 1-line block ×3, first 2 shown]
	s_wait_dscnt 0x7
	v_pk_add_f32 v[26:27], v[26:27], v[28:29]
	ds_bpermute_b32 v20, v42, v14
	ds_bpermute_b32 v21, v42, v15
	s_wait_dscnt 0x7
	v_pk_add_f32 v[4:5], v[4:5], v[30:31]
	ds_bpermute_b32 v32, v41, v8
	ds_bpermute_b32 v33, v41, v9
	;; [unrolled: 1-line block ×6, first 2 shown]
	v_dual_cndmask_b32 v3, -v3, v3, s1 :: v_dual_cndmask_b32 v2, -v2, v2, s1
	v_dual_cndmask_b32 v7, -v7, v7, s2 :: v_dual_cndmask_b32 v9, -v9, v9, s2
	;; [unrolled: 1-line block ×4, first 2 shown]
	s_wait_dscnt 0xa
	v_pk_add_f32 v[2:3], v[2:3], v[24:25]
	v_dual_cndmask_b32 v5, -v5, v5, s2 :: v_dual_cndmask_b32 v4, -v4, v4, s2
	s_wait_dscnt 0x8
	v_pk_add_f32 v[6:7], v[6:7], v[22:23]
	v_dual_cndmask_b32 v23, -v27, v27, s2 :: v_dual_cndmask_b32 v22, -v26, v26, s2
	s_wait_dscnt 0x6
	v_pk_add_f32 v[14:15], v[14:15], v[20:21]
	ds_bpermute_b32 v20, v34, v2
	ds_bpermute_b32 v21, v34, v3
	s_wait_dscnt 0x6
	v_pk_add_f32 v[8:9], v[8:9], v[32:33]
	s_wait_dscnt 0x4
	v_pk_add_f32 v[22:23], v[22:23], v[28:29]
	;; [unrolled: 2-line block ×3, first 2 shown]
	ds_bpermute_b32 v24, v42, v6
	ds_bpermute_b32 v25, v42, v7
	;; [unrolled: 1-line block ×8, first 2 shown]
	v_dual_cndmask_b32 v3, -v3, v3, s4 :: v_dual_cndmask_b32 v2, -v2, v2, s4
	ds_bpermute_b32 v27, v34, v15
	v_dual_cndmask_b32 v15, -v15, v15, s4 :: v_dual_cndmask_b32 v6, -v6, v6, s1
	v_dual_cndmask_b32 v7, -v7, v7, s1 :: v_dual_cndmask_b32 v5, -v5, v5, s1
	v_cndmask_b32_e64 v4, -v4, v4, s1
	s_wait_dscnt 0x9
	v_pk_add_f32 v[20:21], v[2:3], v[20:21]
	v_dual_cndmask_b32 v3, -v9, v9, s1 :: v_dual_cndmask_b32 v2, -v8, v8, s1
	v_dual_cndmask_b32 v9, -v23, v23, s1 :: v_dual_cndmask_b32 v8, -v22, v22, s1
	ds_bpermute_b32 v26, v34, v14
	v_cndmask_b32_e64 v14, -v14, v14, s4
	s_wait_dscnt 0x8
	v_pk_add_f32 v[6:7], v[6:7], v[24:25]
	s_wait_dscnt 0x6
	v_pk_add_f32 v[2:3], v[2:3], v[28:29]
	;; [unrolled: 2-line block ×3, first 2 shown]
	ds_bpermute_b32 v18, v45, v10
	s_wait_dscnt 0x3
	v_pk_add_f32 v[4:5], v[4:5], v[32:33]
	ds_bpermute_b32 v22, v34, v6
	ds_bpermute_b32 v23, v34, v7
	;; [unrolled: 1-line block ×8, first 2 shown]
	v_dual_cndmask_b32 v10, -v10, v10, s5 :: v_dual_cndmask_b32 v7, -v7, v7, s4
	v_dual_cndmask_b32 v6, -v6, v6, s4 :: v_dual_cndmask_b32 v3, -v3, v3, s4
	;; [unrolled: 1-line block ×3, first 2 shown]
	s_wait_dscnt 0x9
	v_pk_add_f32 v[14:15], v[14:15], v[26:27]
	v_dual_cndmask_b32 v8, -v8, v8, s4 :: v_dual_cndmask_b32 v5, -v5, v5, s4
	v_cndmask_b32_e64 v4, -v4, v4, s4
	ds_bpermute_b32 v16, v45, v12
	ds_bpermute_b32 v19, v45, v11
	;; [unrolled: 1-line block ×3, first 2 shown]
	s_wait_dscnt 0x9
	v_pk_add_f32 v[6:7], v[6:7], v[22:23]
	ds_bpermute_b32 v32, v45, v14
	s_wait_dscnt 0x8
	v_pk_add_f32 v[22:23], v[2:3], v[24:25]
	ds_bpermute_b32 v33, v45, v15
	s_wait_dscnt 0x7
	v_pk_add_f32 v[24:25], v[8:9], v[28:29]
	v_cndmask_b32_e64 v9, -v15, v15, s5
	s_wait_dscnt 0x5
	v_pk_add_f32 v[28:29], v[4:5], v[30:31]
	ds_bpermute_b32 v27, v45, v21
	ds_bpermute_b32 v30, v45, v6
	;; [unrolled: 1-line block ×9, first 2 shown]
	v_dual_cndmask_b32 v12, -v12, v12, s5 :: v_dual_cndmask_b32 v11, -v11, v11, s5
	v_dual_cndmask_b32 v8, -v14, v14, s5 :: v_dual_cndmask_b32 v15, -v25, v25, s5
	v_cndmask_b32_e64 v14, -v24, v24, s5
	s_wait_dscnt 0xd
	s_delay_alu instid0(VALU_DEP_3)
	v_pk_add_f32 v[2:3], v[12:13], v[16:17]
	s_wait_dscnt 0xc
	v_pk_add_f32 v[4:5], v[10:11], v[18:19]
	v_dual_cndmask_b32 v11, -v21, v21, s5 :: v_dual_cndmask_b32 v10, -v20, v20, s5
	v_dual_cndmask_b32 v19, -v7, v7, s5 :: v_dual_cndmask_b32 v17, -v29, v29, s5
	;; [unrolled: 1-line block ×3, first 2 shown]
	v_cndmask_b32_e64 v12, -v22, v22, s5
	v_cndmask_b32_e64 v18, -v6, v6, s5
	s_wait_dscnt 0x9
	v_pk_add_f32 v[8:9], v[8:9], v[32:33]
	s_wait_dscnt 0x8
	v_pk_add_f32 v[6:7], v[10:11], v[26:27]
	;; [unrolled: 2-line block ×3, first 2 shown]
	v_lshl_add_u32 v38, v44, 4, 0
	v_pk_add_f32 v[14:15], v[14:15], v[36:37]
	s_wait_dscnt 0x1
	v_pk_add_f32 v[12:13], v[12:13], v[34:35]
	s_wait_dscnt 0x0
	v_pk_add_f32 v[10:11], v[18:19], v[30:31]
	ds_store_b128 v43, v[6:9]
	ds_store_b128 v43, v[2:5] offset:4096
	ds_store_b128 v43, v[14:17] offset:8192
	;; [unrolled: 1-line block ×3, first 2 shown]
	s_wait_dscnt 0x0
	s_barrier_signal -1
	s_barrier_wait -1
	ds_load_b128 v[2:5], v38
	ds_load_b128 v[6:9], v38 offset:4096
	s_wait_dscnt 0x1
	ds_bpermute_b32 v10, v40, v2
	ds_bpermute_b32 v11, v40, v3
	;; [unrolled: 1-line block ×4, first 2 shown]
	v_dual_cndmask_b32 v3, -v3, v3, s3 :: v_dual_cndmask_b32 v2, -v2, v2, s3
	v_cndmask_b32_e64 v5, -v5, v5, s3
	s_wait_dscnt 0x4
	ds_bpermute_b32 v18, v40, v6
	ds_bpermute_b32 v19, v40, v7
	ds_bpermute_b32 v20, v40, v8
	ds_bpermute_b32 v21, v40, v9
	v_dual_cndmask_b32 v7, -v7, v7, s3 :: v_dual_cndmask_b32 v9, -v9, v9, s3
	v_cndmask_b32_e64 v8, -v8, v8, s3
	s_wait_dscnt 0x6
	v_pk_add_f32 v[2:3], v[2:3], v[10:11]
	s_delay_alu instid0(VALU_DEP_1) | instskip(SKIP_1) | instid1(VALU_DEP_1)
	v_dual_cndmask_b32 v4, -v4, v4, s3 :: v_dual_cndmask_b32 v17, -v3, v3, s2
	s_wait_dscnt 0x4
	v_pk_add_f32 v[10:11], v[4:5], v[12:13]
	ds_bpermute_b32 v12, v41, v2
	ds_bpermute_b32 v13, v41, v3
	v_cndmask_b32_e64 v16, -v2, v2, s2
	ds_load_b128 v[2:5], v38 offset:8192
	ds_bpermute_b32 v14, v41, v10
	ds_bpermute_b32 v15, v41, v11
	v_dual_cndmask_b32 v11, -v11, v11, s2 :: v_dual_cndmask_b32 v10, -v10, v10, s2
	s_wait_dscnt 0x5
	v_pk_add_f32 v[8:9], v[8:9], v[20:21]
	ds_bpermute_b32 v28, v41, v8
	ds_bpermute_b32 v29, v41, v9
	v_cndmask_b32_e64 v9, -v9, v9, s2
	s_wait_dscnt 0x5
	v_pk_add_f32 v[16:17], v[16:17], v[12:13]
	v_cndmask_b32_e64 v6, -v6, v6, s3
	s_wait_dscnt 0x2
	v_pk_add_f32 v[14:15], v[10:11], v[14:15]
	ds_load_b128 v[10:13], v38 offset:12288
	ds_bpermute_b32 v23, v42, v17
	v_cndmask_b32_e64 v17, -v17, v17, s1
	v_pk_add_f32 v[6:7], v[6:7], v[18:19]
	ds_bpermute_b32 v18, v40, v2
	ds_bpermute_b32 v19, v40, v3
	;; [unrolled: 1-line block ×6, first 2 shown]
	v_dual_cndmask_b32 v3, -v3, v3, s3 :: v_dual_cndmask_b32 v5, -v5, v5, s3
	v_dual_cndmask_b32 v4, -v4, v4, s3 :: v_dual_cndmask_b32 v2, -v2, v2, s3
	v_cndmask_b32_e64 v8, -v8, v8, s2
	ds_bpermute_b32 v22, v42, v16
	ds_bpermute_b32 v25, v42, v15
	v_dual_cndmask_b32 v16, -v16, v16, s1 :: v_dual_cndmask_b32 v7, -v7, v7, s2
	v_cndmask_b32_e64 v6, -v6, v6, s2
	s_wait_dscnt 0x9
	ds_bpermute_b32 v30, v40, v10
	ds_bpermute_b32 v31, v40, v11
	;; [unrolled: 1-line block ×4, first 2 shown]
	v_cndmask_b32_e64 v11, -v11, v11, s3
	s_wait_dscnt 0xa
	v_pk_add_f32 v[2:3], v[2:3], v[18:19]
	v_dual_cndmask_b32 v10, -v10, v10, s3 :: v_dual_cndmask_b32 v13, -v13, v13, s3
	v_dual_cndmask_b32 v12, -v12, v12, s3 :: v_dual_cndmask_b32 v15, -v15, v15, s1
	s_wait_dscnt 0x8
	v_pk_add_f32 v[4:5], v[4:5], v[20:21]
	ds_bpermute_b32 v18, v41, v2
	ds_bpermute_b32 v19, v41, v3
	s_wait_dscnt 0x8
	v_pk_add_f32 v[6:7], v[6:7], v[26:27]
	ds_bpermute_b32 v24, v42, v14
	ds_bpermute_b32 v20, v41, v4
	;; [unrolled: 1-line block ×3, first 2 shown]
	v_dual_cndmask_b32 v14, -v14, v14, s1 :: v_dual_cndmask_b32 v3, -v3, v3, s2
	v_dual_cndmask_b32 v2, -v2, v2, s2 :: v_dual_cndmask_b32 v5, -v5, v5, s2
	s_wait_dscnt 0x7
	v_pk_add_f32 v[10:11], v[10:11], v[30:31]
	v_cndmask_b32_e64 v4, -v4, v4, s2
	s_wait_dscnt 0x5
	v_pk_add_f32 v[12:13], v[12:13], v[32:33]
	v_pk_add_f32 v[8:9], v[8:9], v[28:29]
	ds_bpermute_b32 v28, v42, v6
	ds_bpermute_b32 v26, v41, v10
	;; [unrolled: 1-line block ×6, first 2 shown]
	v_cndmask_b32_e64 v9, -v9, v9, s1
	s_wait_dscnt 0x9
	v_pk_add_f32 v[18:19], v[2:3], v[18:19]
	v_dual_cndmask_b32 v3, -v11, v11, s2 :: v_dual_cndmask_b32 v2, -v10, v10, s2
	v_dual_cndmask_b32 v11, -v13, v13, s2 :: v_dual_cndmask_b32 v10, -v12, v12, s2
	s_wait_dscnt 0x6
	v_pk_add_f32 v[12:13], v[4:5], v[20:21]
	ds_bpermute_b32 v32, v42, v8
	ds_bpermute_b32 v29, v42, v7
	;; [unrolled: 1-line block ×4, first 2 shown]
	v_dual_cndmask_b32 v8, -v8, v8, s1 :: v_dual_cndmask_b32 v7, -v7, v7, s1
	v_cndmask_b32_e64 v6, -v6, v6, s1
	v_pk_add_f32 v[4:5], v[14:15], v[24:25]
	v_cndmask_b32_e64 v15, -v19, v19, s1
	s_wait_dscnt 0x7
	v_pk_add_f32 v[26:27], v[2:3], v[26:27]
	v_cndmask_b32_e64 v14, -v18, v18, s1
	s_wait_dscnt 0x5
	v_pk_add_f32 v[10:11], v[10:11], v[30:31]
	ds_bpermute_b32 v30, v42, v12
	ds_bpermute_b32 v31, v42, v13
	;; [unrolled: 1-line block ×6, first 2 shown]
	v_dual_cndmask_b32 v13, -v13, v13, s1 :: v_dual_cndmask_b32 v12, -v12, v12, s1
	v_cndmask_b32_e64 v19, -v27, v27, s1
	v_pk_add_f32 v[2:3], v[16:17], v[22:23]
	v_dual_cndmask_b32 v17, -v11, v11, s1 :: v_dual_cndmask_b32 v16, -v10, v10, s1
	v_cndmask_b32_e64 v18, -v26, v26, s1
	s_wait_dscnt 0x9
	v_pk_add_f32 v[8:9], v[8:9], v[32:33]
	s_wait_dscnt 0x8
	v_pk_add_f32 v[6:7], v[6:7], v[28:29]
	;; [unrolled: 2-line block ×3, first 2 shown]
	s_wait_dscnt 0x0
	s_barrier_signal -1
	s_barrier_wait -1
	s_mul_u64 s[2:3], s[6:7], s[12:13]
	v_pk_add_f32 v[12:13], v[12:13], v[30:31]
	s_lshl_b64 s[2:3], s[2:3], 1
	v_pk_add_f32 v[14:15], v[18:19], v[34:35]
	s_add_nc_u64 s[2:3], s[10:11], s[2:3]
	v_pk_add_f32 v[16:17], v[16:17], v[36:37]
	ds_store_b128 v38, v[2:5]
	ds_store_b128 v38, v[6:9] offset:4096
	ds_store_b128 v38, v[10:13] offset:8192
	;; [unrolled: 1-line block ×3, first 2 shown]
	s_wait_dscnt 0x0
	s_barrier_signal -1
	s_barrier_wait -1
	ds_load_b128 v[10:13], v43
	ds_load_b128 v[2:5], v43 offset:4096
	ds_load_b128 v[14:17], v43 offset:8192
	;; [unrolled: 1-line block ×3, first 2 shown]
	s_and_saveexec_b32 s1, vcc_lo
	s_cbranch_execnz .LBB22_7
; %bb.5:
	s_or_b32 exec_lo, exec_lo, s1
	s_and_saveexec_b32 s1, s0
	s_cbranch_execnz .LBB22_8
.LBB22_6:
	s_endpgm
.LBB22_7:
	s_mov_b32 s4, s8
	s_mov_b32 s5, s8
	v_mov_b64_e32 v[24:25], s[8:9]
	v_mov_b64_e32 v[22:23], s[4:5]
	s_wait_dscnt 0x1
	v_pk_add_f32 v[18:19], v[12:13], v[16:17]
	v_pk_add_f32 v[20:21], v[10:11], v[14:15]
	s_wait_dscnt 0x0
	v_pk_add_f32 v[26:27], v[4:5], v[8:9]
	v_pk_add_f32 v[28:29], v[2:3], v[6:7]
	s_delay_alu instid0(VALU_DEP_3) | instskip(SKIP_1) | instid1(VALU_DEP_4)
	v_pk_mul_f32 v[20:21], v[24:25], v[20:21]
	v_pk_mul_f32 v[18:19], v[22:23], v[18:19]
	;; [unrolled: 1-line block ×3, first 2 shown]
	s_delay_alu instid0(VALU_DEP_4) | instskip(NEXT) | instid1(VALU_DEP_3)
	v_pk_mul_f32 v[24:25], v[24:25], v[28:29]
	v_cvt_pk_f16_f32 v19, v18, v19
	v_cvt_pk_f16_f32 v18, v20, v21
	s_delay_alu instid0(VALU_DEP_4) | instskip(NEXT) | instid1(VALU_DEP_4)
	v_cvt_pk_f16_f32 v21, v22, v23
	v_cvt_pk_f16_f32 v20, v24, v25
	global_store_b128 v0, v[18:21], s[2:3] scale_offset
	s_wait_xcnt 0x0
	s_or_b32 exec_lo, exec_lo, s1
	s_and_saveexec_b32 s1, s0
	s_cbranch_execz .LBB22_6
.LBB22_8:
	s_wait_dscnt 0x1
	v_dual_sub_f32 v13, v13, v17 :: v_dual_sub_f32 v12, v12, v16
	v_mov_b64_e32 v[16:17], s[8:9]
	s_mov_b32 s9, s8
	v_dual_sub_f32 v11, v11, v15 :: v_dual_sub_f32 v10, v10, v14
	v_mov_b64_e32 v[14:15], s[8:9]
	s_wait_dscnt 0x0
	v_dual_sub_f32 v5, v5, v9 :: v_dual_sub_f32 v4, v4, v8
	v_dual_sub_f32 v3, v3, v7 :: v_dual_sub_f32 v2, v2, v6
	v_pk_mul_f32 v[8:9], v[16:17], v[10:11]
	s_delay_alu instid0(VALU_DEP_4) | instskip(NEXT) | instid1(VALU_DEP_4)
	v_pk_mul_f32 v[6:7], v[14:15], v[12:13]
	v_pk_mul_f32 v[4:5], v[14:15], v[4:5]
	s_delay_alu instid0(VALU_DEP_4) | instskip(NEXT) | instid1(VALU_DEP_4)
	v_pk_mul_f32 v[10:11], v[16:17], v[2:3]
	v_cvt_pk_f16_f32 v2, v8, v9
	s_delay_alu instid0(VALU_DEP_4) | instskip(NEXT) | instid1(VALU_DEP_4)
	v_cvt_pk_f16_f32 v3, v6, v7
	v_cvt_pk_f16_f32 v5, v4, v5
	s_delay_alu instid0(VALU_DEP_4)
	v_cvt_pk_f16_f32 v4, v10, v11
	global_store_b128 v1, v[2:5], s[2:3] scale_offset
	s_endpgm
	.section	.rodata,"a",@progbits
	.p2align	6, 0x0
	.amdhsa_kernel _Z30fast_hadamard_transform_kernelI37fast_hadamard_transform_kernel_traitsILi256ELi12E6__halfEEv18HadamardParamsBase
		.amdhsa_group_segment_fixed_size 0
		.amdhsa_private_segment_fixed_size 0
		.amdhsa_kernarg_size 312
		.amdhsa_user_sgpr_count 2
		.amdhsa_user_sgpr_dispatch_ptr 0
		.amdhsa_user_sgpr_queue_ptr 0
		.amdhsa_user_sgpr_kernarg_segment_ptr 1
		.amdhsa_user_sgpr_dispatch_id 0
		.amdhsa_user_sgpr_kernarg_preload_length 0
		.amdhsa_user_sgpr_kernarg_preload_offset 0
		.amdhsa_user_sgpr_private_segment_size 0
		.amdhsa_wavefront_size32 1
		.amdhsa_uses_dynamic_stack 0
		.amdhsa_enable_private_segment 0
		.amdhsa_system_sgpr_workgroup_id_x 1
		.amdhsa_system_sgpr_workgroup_id_y 0
		.amdhsa_system_sgpr_workgroup_id_z 0
		.amdhsa_system_sgpr_workgroup_info 0
		.amdhsa_system_vgpr_workitem_id 0
		.amdhsa_next_free_vgpr 46
		.amdhsa_next_free_sgpr 16
		.amdhsa_named_barrier_count 0
		.amdhsa_reserve_vcc 1
		.amdhsa_float_round_mode_32 0
		.amdhsa_float_round_mode_16_64 0
		.amdhsa_float_denorm_mode_32 3
		.amdhsa_float_denorm_mode_16_64 3
		.amdhsa_fp16_overflow 0
		.amdhsa_memory_ordered 1
		.amdhsa_forward_progress 1
		.amdhsa_inst_pref_size 32
		.amdhsa_round_robin_scheduling 0
		.amdhsa_exception_fp_ieee_invalid_op 0
		.amdhsa_exception_fp_denorm_src 0
		.amdhsa_exception_fp_ieee_div_zero 0
		.amdhsa_exception_fp_ieee_overflow 0
		.amdhsa_exception_fp_ieee_underflow 0
		.amdhsa_exception_fp_ieee_inexact 0
		.amdhsa_exception_int_div_zero 0
	.end_amdhsa_kernel
	.section	.text._Z30fast_hadamard_transform_kernelI37fast_hadamard_transform_kernel_traitsILi256ELi12E6__halfEEv18HadamardParamsBase,"axG",@progbits,_Z30fast_hadamard_transform_kernelI37fast_hadamard_transform_kernel_traitsILi256ELi12E6__halfEEv18HadamardParamsBase,comdat
.Lfunc_end22:
	.size	_Z30fast_hadamard_transform_kernelI37fast_hadamard_transform_kernel_traitsILi256ELi12E6__halfEEv18HadamardParamsBase, .Lfunc_end22-_Z30fast_hadamard_transform_kernelI37fast_hadamard_transform_kernel_traitsILi256ELi12E6__halfEEv18HadamardParamsBase
                                        ; -- End function
	.set _Z30fast_hadamard_transform_kernelI37fast_hadamard_transform_kernel_traitsILi256ELi12E6__halfEEv18HadamardParamsBase.num_vgpr, 46
	.set _Z30fast_hadamard_transform_kernelI37fast_hadamard_transform_kernel_traitsILi256ELi12E6__halfEEv18HadamardParamsBase.num_agpr, 0
	.set _Z30fast_hadamard_transform_kernelI37fast_hadamard_transform_kernel_traitsILi256ELi12E6__halfEEv18HadamardParamsBase.numbered_sgpr, 16
	.set _Z30fast_hadamard_transform_kernelI37fast_hadamard_transform_kernel_traitsILi256ELi12E6__halfEEv18HadamardParamsBase.num_named_barrier, 0
	.set _Z30fast_hadamard_transform_kernelI37fast_hadamard_transform_kernel_traitsILi256ELi12E6__halfEEv18HadamardParamsBase.private_seg_size, 0
	.set _Z30fast_hadamard_transform_kernelI37fast_hadamard_transform_kernel_traitsILi256ELi12E6__halfEEv18HadamardParamsBase.uses_vcc, 1
	.set _Z30fast_hadamard_transform_kernelI37fast_hadamard_transform_kernel_traitsILi256ELi12E6__halfEEv18HadamardParamsBase.uses_flat_scratch, 0
	.set _Z30fast_hadamard_transform_kernelI37fast_hadamard_transform_kernel_traitsILi256ELi12E6__halfEEv18HadamardParamsBase.has_dyn_sized_stack, 0
	.set _Z30fast_hadamard_transform_kernelI37fast_hadamard_transform_kernel_traitsILi256ELi12E6__halfEEv18HadamardParamsBase.has_recursion, 0
	.set _Z30fast_hadamard_transform_kernelI37fast_hadamard_transform_kernel_traitsILi256ELi12E6__halfEEv18HadamardParamsBase.has_indirect_call, 0
	.section	.AMDGPU.csdata,"",@progbits
; Kernel info:
; codeLenInByte = 4068
; TotalNumSgprs: 18
; NumVgprs: 46
; ScratchSize: 0
; MemoryBound: 0
; FloatMode: 240
; IeeeMode: 1
; LDSByteSize: 0 bytes/workgroup (compile time only)
; SGPRBlocks: 0
; VGPRBlocks: 2
; NumSGPRsForWavesPerEU: 18
; NumVGPRsForWavesPerEU: 46
; NamedBarCnt: 0
; Occupancy: 16
; WaveLimiterHint : 0
; COMPUTE_PGM_RSRC2:SCRATCH_EN: 0
; COMPUTE_PGM_RSRC2:USER_SGPR: 2
; COMPUTE_PGM_RSRC2:TRAP_HANDLER: 0
; COMPUTE_PGM_RSRC2:TGID_X_EN: 1
; COMPUTE_PGM_RSRC2:TGID_Y_EN: 0
; COMPUTE_PGM_RSRC2:TGID_Z_EN: 0
; COMPUTE_PGM_RSRC2:TIDIG_COMP_CNT: 0
	.section	.text._Z30fast_hadamard_transform_kernelI37fast_hadamard_transform_kernel_traitsILi256ELi13E6__halfEEv18HadamardParamsBase,"axG",@progbits,_Z30fast_hadamard_transform_kernelI37fast_hadamard_transform_kernel_traitsILi256ELi13E6__halfEEv18HadamardParamsBase,comdat
	.protected	_Z30fast_hadamard_transform_kernelI37fast_hadamard_transform_kernel_traitsILi256ELi13E6__halfEEv18HadamardParamsBase ; -- Begin function _Z30fast_hadamard_transform_kernelI37fast_hadamard_transform_kernel_traitsILi256ELi13E6__halfEEv18HadamardParamsBase
	.globl	_Z30fast_hadamard_transform_kernelI37fast_hadamard_transform_kernel_traitsILi256ELi13E6__halfEEv18HadamardParamsBase
	.p2align	8
	.type	_Z30fast_hadamard_transform_kernelI37fast_hadamard_transform_kernel_traitsILi256ELi13E6__halfEEv18HadamardParamsBase,@function
_Z30fast_hadamard_transform_kernelI37fast_hadamard_transform_kernel_traitsILi256ELi13E6__halfEEv18HadamardParamsBase: ; @_Z30fast_hadamard_transform_kernelI37fast_hadamard_transform_kernel_traitsILi256ELi13E6__halfEEv18HadamardParamsBase
; %bb.0:
	s_clause 0x1
	s_load_b128 s[8:11], s[0:1], 0x10
	s_load_b32 s6, s[0:1], 0x4
	s_bfe_u32 s3, ttmp6, 0x4000c
	s_load_b128 s[12:15], s[0:1], 0x28
	s_add_co_i32 s5, s3, 1
	s_load_b32 s3, s[0:1], 0x44
	s_and_b32 s2, ttmp6, 15
	s_mul_i32 s5, ttmp9, s5
	s_getreg_b32 s4, hwreg(HW_REG_IB_STS2, 6, 4)
	s_add_co_i32 s2, s2, s5
	s_cmp_eq_u32 s4, 0
	v_dual_mov_b32 v5, 0 :: v_dual_lshlrev_b32 v1, 3, v0
	s_cselect_b32 s16, ttmp9, s2
	v_dual_mov_b32 v8, 0 :: v_dual_mov_b32 v4, 0
	s_ashr_i32 s17, s16, 31
	v_dual_mov_b32 v12, 0 :: v_dual_mov_b32 v13, 0
	v_dual_mov_b32 v24, 0 :: v_dual_mov_b32 v25, 0
	s_wait_kmcnt 0x0
	s_mul_u64 s[4:5], s[8:9], s[16:17]
	v_cmp_gt_u32_e64 s2, s6, v1
	v_dual_mov_b32 v2, 0 :: v_dual_mov_b32 v3, 0
	s_lshl_b64 s[4:5], s[4:5], 1
	s_delay_alu instid0(SALU_CYCLE_1)
	s_add_nc_u64 s[4:5], s[12:13], s[4:5]
	s_and_saveexec_b32 s7, s2
	s_cbranch_execz .LBB23_2
; %bb.1:
	global_load_b128 v[4:7], v0, s[4:5] scale_offset
	s_wait_loadcnt 0x0
	v_lshrrev_b32_e32 v1, 16, v4
	v_cvt_f32_f16_e32 v24, v5
	v_lshrrev_b32_e32 v5, 16, v5
	v_cvt_f32_f16_e32 v12, v6
	v_dual_lshrrev_b32 v6, 16, v6 :: v_dual_lshrrev_b32 v9, 16, v7
	v_cvt_f32_f16_e32 v2, v4
	v_cvt_f32_f16_e32 v4, v7
	;; [unrolled: 1-line block ×6, first 2 shown]
.LBB23_2:
	s_or_b32 exec_lo, exec_lo, s7
	s_and_b32 s7, 0xffff, s3
	v_dual_mov_b32 v7, 0 :: v_dual_mov_b32 v14, 0
	v_dual_mov_b32 v9, 0 :: v_dual_add_nc_u32 v50, s7, v0
	v_dual_mov_b32 v6, 0 :: v_dual_mov_b32 v15, 0
	s_delay_alu instid0(VALU_DEP_2) | instskip(SKIP_1) | instid1(VALU_DEP_2)
	v_dual_mov_b32 v10, 0 :: v_dual_lshlrev_b32 v1, 3, v50
	v_mov_b32_e32 v11, 0
	v_cmp_gt_u32_e32 vcc_lo, s6, v1
	s_and_saveexec_b32 s3, vcc_lo
	s_cbranch_execz .LBB23_4
; %bb.3:
	global_load_b128 v[6:9], v50, s[4:5] scale_offset
	s_wait_loadcnt 0x0
	v_lshrrev_b32_e32 v1, 16, v6
	v_cvt_f32_f16_e32 v14, v7
	v_dual_lshrrev_b32 v7, 16, v7 :: v_dual_lshrrev_b32 v16, 16, v8
	v_lshrrev_b32_e32 v17, 16, v9
	v_cvt_f32_f16_e32 v10, v6
	v_cvt_f32_f16_e32 v6, v8
	;; [unrolled: 1-line block ×7, first 2 shown]
.LBB23_4:
	s_or_b32 exec_lo, exec_lo, s3
	v_dual_mov_b32 v16, 0 :: v_dual_add_nc_u32 v51, s7, v50
	v_dual_mov_b32 v20, 0 :: v_dual_mov_b32 v18, 0
	s_delay_alu instid0(VALU_DEP_2) | instskip(SKIP_2) | instid1(VALU_DEP_3)
	v_dual_mov_b32 v19, 0 :: v_dual_lshlrev_b32 v1, 3, v51
	v_dual_mov_b32 v21, 0 :: v_dual_mov_b32 v22, 0
	v_dual_mov_b32 v23, 0 :: v_dual_mov_b32 v30, 0
	v_cmp_gt_u32_e64 s3, s6, v1
	v_mov_b32_e32 v31, 0
	s_and_saveexec_b32 s8, s3
	s_cbranch_execz .LBB23_6
; %bb.5:
	global_load_b128 v[26:29], v51, s[4:5] scale_offset
	s_wait_loadcnt 0x0
	v_cvt_f32_f16_e32 v30, v26
	v_dual_lshrrev_b32 v1, 16, v26 :: v_dual_lshrrev_b32 v17, 16, v27
	v_dual_lshrrev_b32 v19, 16, v28 :: v_dual_lshrrev_b32 v26, 16, v29
	v_cvt_f32_f16_e32 v22, v27
	v_cvt_f32_f16_e32 v20, v28
	;; [unrolled: 1-line block ×7, first 2 shown]
.LBB23_6:
	s_or_b32 exec_lo, exec_lo, s8
	s_load_b32 s8, s[0:1], 0x20
	v_dual_mov_b32 v17, 0 :: v_dual_add_nc_u32 v52, s7, v51
	v_dual_mov_b32 v27, 0 :: v_dual_mov_b32 v28, 0
	s_delay_alu instid0(VALU_DEP_2) | instskip(SKIP_3) | instid1(VALU_DEP_3)
	v_dual_mov_b32 v26, 0 :: v_dual_lshlrev_b32 v1, 3, v52
	v_dual_mov_b32 v29, 0 :: v_dual_mov_b32 v32, 0
	v_mov_b32_e32 v33, 0
	s_wait_xcnt 0x0
	v_cmp_gt_u32_e64 s0, s6, v1
	s_and_saveexec_b32 s1, s0
	s_cbranch_execz .LBB23_8
; %bb.7:
	global_load_b128 v[34:37], v52, s[4:5] scale_offset
	s_wait_loadcnt 0x0
	v_cvt_f32_f16_e32 v32, v34
	v_dual_lshrrev_b32 v1, 16, v34 :: v_dual_lshrrev_b32 v17, 16, v35
	v_dual_lshrrev_b32 v27, 16, v36 :: v_dual_lshrrev_b32 v34, 16, v37
	v_cvt_f32_f16_e32 v28, v35
	v_cvt_f32_f16_e32 v26, v36
	;; [unrolled: 1-line block ×7, first 2 shown]
.LBB23_8:
	s_or_b32 exec_lo, exec_lo, s1
	v_mbcnt_lo_u32_b32 v48, -1, 0
	v_pk_add_f32 v[34:35], v[2:3], v[2:3] op_sel_hi:[0,1] neg_lo:[0,1] neg_hi:[0,1]
	v_pk_add_f32 v[36:37], v[10:11], v[10:11] op_sel_hi:[0,1] neg_lo:[0,1] neg_hi:[0,1]
	v_add_f32_e32 v34, v2, v3
	v_pk_add_f32 v[2:3], v[30:31], v[30:31] op_sel_hi:[0,1] neg_lo:[0,1] neg_hi:[0,1]
	v_dual_add_f32 v36, v10, v11 :: v_dual_add_f32 v2, v32, v33
	v_add_f32_e32 v10, v30, v31
	v_pk_add_f32 v[30:31], v[24:25], v[24:25] op_sel_hi:[0,1] neg_lo:[0,1] neg_hi:[0,1]
	v_add_f32_e32 v30, v24, v25
	v_pk_add_f32 v[24:25], v[12:13], v[12:13] op_sel_hi:[0,1] neg_lo:[0,1] neg_hi:[0,1]
	v_dual_add_f32 v40, v12, v13 :: v_dual_bitop2_b32 v1, 1, v48 bitop3:0x14
	v_pk_add_f32 v[38:39], v[4:5], v[4:5] op_sel_hi:[0,1] neg_lo:[0,1] neg_hi:[0,1]
	s_delay_alu instid0(VALU_DEP_3) | instskip(SKIP_1) | instid1(VALU_DEP_4)
	v_dual_add_f32 v38, v4, v5 :: v_dual_mov_b32 v41, v25
	v_mov_b32_e32 v11, v3
	v_cmp_gt_i32_e64 s1, 32, v1
	v_pk_add_f32 v[32:33], v[32:33], v[32:33] op_sel_hi:[0,1] neg_lo:[0,1] neg_hi:[0,1]
	v_pk_add_f32 v[42:43], v[30:31], v[34:35]
	v_pk_add_f32 v[44:45], v[38:39], v[40:41]
	v_pk_add_f32 v[4:5], v[14:15], v[14:15] op_sel_hi:[0,1] neg_lo:[0,1] neg_hi:[0,1]
	s_delay_alu instid0(VALU_DEP_4) | instskip(SKIP_1) | instid1(VALU_DEP_4)
	v_dual_cndmask_b32 v1, v48, v1, s1 :: v_dual_mov_b32 v3, v33
	v_pk_add_f32 v[12:13], v[22:23], v[22:23] op_sel_hi:[0,1] neg_lo:[0,1] neg_hi:[0,1]
	v_dual_sub_f32 v25, v43, v45 :: v_dual_add_f32 v12, v22, v23
	s_delay_alu instid0(VALU_DEP_3)
	v_dual_sub_f32 v1, v42, v44 :: v_dual_lshlrev_b32 v24, 2, v1
	v_dual_add_f32 v32, v14, v15 :: v_dual_mov_b32 v33, v5
	v_pk_add_f32 v[4:5], v[28:29], v[28:29] op_sel_hi:[0,1] neg_lo:[0,1] neg_hi:[0,1]
	ds_bpermute_b32 v23, v24, v25
	ds_bpermute_b32 v22, v24, v1
	v_dual_add_f32 v4, v28, v29 :: v_dual_bitop2_b32 v46, 1, v0 bitop3:0x40
	v_dual_add_f32 v28, v6, v7 :: v_dual_bitop2_b32 v47, 2, v48 bitop3:0x14
	v_pk_add_f32 v[14:15], v[6:7], v[6:7] op_sel_hi:[0,1] neg_lo:[0,1] neg_hi:[0,1]
	v_pk_add_f32 v[30:31], v[34:35], v[30:31] neg_lo:[0,1] neg_hi:[0,1]
	s_delay_alu instid0(VALU_DEP_4) | instskip(SKIP_4) | instid1(VALU_DEP_3)
	v_cmp_eq_u32_e64 s4, 0, v46
	v_pk_add_f32 v[34:35], v[40:41], v[38:39] neg_lo:[0,1] neg_hi:[0,1]
	v_cmp_gt_i32_e64 s1, 32, v47
	v_pk_add_f32 v[6:7], v[20:21], v[20:21] op_sel_hi:[0,1] neg_lo:[0,1] neg_hi:[0,1]
	v_dual_mov_b32 v29, v15 :: v_dual_add_f32 v14, v20, v21
	v_dual_cndmask_b32 v21, -v25, v25, s4 :: v_dual_cndmask_b32 v6, v48, v47, s1
	s_delay_alu instid0(VALU_DEP_3) | instskip(SKIP_1) | instid1(VALU_DEP_3)
	v_dual_cndmask_b32 v20, -v1, v1, s4 :: v_dual_mov_b32 v15, v7
	v_dual_sub_f32 v25, v30, v34 :: v_dual_sub_f32 v47, v31, v35
	v_dual_add_f32 v6, v26, v27 :: v_dual_lshlrev_b32 v1, 2, v6
	s_wait_dscnt 0x0
	s_delay_alu instid0(VALU_DEP_3)
	v_pk_add_f32 v[20:21], v[20:21], v[22:23]
	v_pk_add_f32 v[22:23], v[26:27], v[26:27] op_sel_hi:[0,1] neg_lo:[0,1] neg_hi:[0,1]
	ds_bpermute_b32 v38, v24, v25
	ds_bpermute_b32 v39, v24, v47
	v_pk_add_f32 v[40:41], v[8:9], v[8:9] op_sel_hi:[0,1] neg_lo:[0,1] neg_hi:[0,1]
	v_dual_add_f32 v40, v8, v9 :: v_dual_mov_b32 v7, v23
	v_and_b32_e32 v22, 2, v0
	v_xor_b32_e32 v23, 4, v48
	ds_bpermute_b32 v26, v1, v20
	ds_bpermute_b32 v27, v1, v21
	v_pk_add_f32 v[8:9], v[18:19], v[18:19] op_sel_hi:[0,1] neg_lo:[0,1] neg_hi:[0,1]
	v_cmp_eq_u32_e64 s5, 0, v22
	v_cmp_gt_i32_e64 s1, 32, v23
	v_dual_cndmask_b32 v22, -v25, v25, s4 :: v_dual_add_f32 v46, v18, v19
	v_pk_add_f32 v[42:43], v[44:45], v[42:43]
	s_delay_alu instid0(VALU_DEP_4) | instskip(NEXT) | instid1(VALU_DEP_4)
	v_cndmask_b32_e64 v20, -v20, v20, s5
	v_cndmask_b32_e64 v8, v48, v23, s1
	v_dual_cndmask_b32 v23, -v47, v47, s4 :: v_dual_mov_b32 v47, v9
	v_dual_cndmask_b32 v21, -v21, v21, s5 :: v_dual_bitop2_b32 v44, 16, v48 bitop3:0x14
	s_delay_alu instid0(VALU_DEP_3)
	v_dual_lshlrev_b32 v18, 2, v8 :: v_dual_add_f32 v8, v16, v17
	v_pk_add_f32 v[16:17], v[16:17], v[16:17] op_sel_hi:[0,1] neg_lo:[0,1] neg_hi:[0,1]
	s_wait_dscnt 0x2
	v_pk_add_f32 v[22:23], v[22:23], v[38:39]
	v_and_b32_e32 v16, 4, v0
	v_xor_b32_e32 v25, 8, v48
	v_dual_mov_b32 v9, v17 :: v_dual_bitop2_b32 v19, 8, v0 bitop3:0x40
	s_wait_dscnt 0x0
	v_pk_add_f32 v[20:21], v[20:21], v[26:27]
	ds_bpermute_b32 v38, v1, v22
	ds_bpermute_b32 v39, v1, v23
	v_cmp_eq_u32_e64 s1, 0, v16
	v_dual_cndmask_b32 v17, -v23, v23, s5 :: v_dual_cndmask_b32 v16, -v22, v22, s5
	v_pk_add_f32 v[22:23], v[34:35], v[30:31]
	ds_bpermute_b32 v30, v24, v42
	ds_bpermute_b32 v31, v24, v43
	v_cmp_gt_i32_e64 s6, 32, v25
	ds_bpermute_b32 v26, v18, v20
	ds_bpermute_b32 v34, v24, v22
	;; [unrolled: 1-line block ×4, first 2 shown]
	v_cndmask_b32_e64 v25, v48, v25, s6
	v_cmp_gt_i32_e64 s7, 32, v44
	v_dual_cndmask_b32 v21, -v21, v21, s1 :: v_dual_cndmask_b32 v20, -v20, v20, s1
	v_cmp_eq_u32_e64 s6, 0, v19
	s_delay_alu instid0(VALU_DEP_4) | instskip(NEXT) | instid1(VALU_DEP_4)
	v_dual_lshlrev_b32 v19, 2, v25 :: v_dual_bitop2_b32 v25, 16, v0 bitop3:0x40
	v_cndmask_b32_e64 v44, v48, v44, s7
	s_wait_dscnt 0x6
	v_pk_add_f32 v[16:17], v[16:17], v[38:39]
	v_dual_cndmask_b32 v39, -v43, v43, s4 :: v_dual_cndmask_b32 v38, -v42, v42, s4
	v_dual_cndmask_b32 v23, -v23, v23, s4 :: v_dual_cndmask_b32 v22, -v22, v22, s4
	v_dual_lshrrev_b32 v42, 5, v0 :: v_dual_bitop2_b32 v45, 7, v0 bitop3:0x40
	s_wait_dscnt 0x4
	s_delay_alu instid0(VALU_DEP_3)
	v_pk_add_f32 v[30:31], v[38:39], v[30:31]
	v_lshlrev_b32_e32 v53, 2, v44
	v_pk_add_f32 v[54:55], v[40:41], v[28:29]
	s_wait_dscnt 0x1
	v_pk_add_f32 v[34:35], v[22:23], v[34:35]
	v_dual_lshrrev_b32 v23, 3, v0 :: v_dual_bitop2_b32 v22, v42, v0 bitop3:0x14
	ds_bpermute_b32 v38, v1, v30
	ds_bpermute_b32 v39, v1, v31
	;; [unrolled: 1-line block ×4, first 2 shown]
	s_wait_dscnt 0x4
	v_pk_add_f32 v[20:21], v[20:21], v[26:27]
	ds_bpermute_b32 v26, v18, v16
	ds_bpermute_b32 v27, v18, v17
	v_dual_cndmask_b32 v31, -v31, v31, s5 :: v_dual_cndmask_b32 v30, -v30, v30, s5
	v_dual_cndmask_b32 v35, -v35, v35, s5 :: v_dual_cndmask_b32 v34, -v34, v34, s5
	;; [unrolled: 1-line block ×3, first 2 shown]
	v_lshlrev_b32_e32 v48, 5, v45
	v_pk_add_f32 v[28:29], v[28:29], v[40:41] neg_lo:[0,1] neg_hi:[0,1]
	v_cmp_eq_u32_e64 s7, 0, v25
	v_lshl_add_u32 v22, v22, 4, 0
	s_wait_dscnt 0x0
	v_bitop3_b32 v23, v48, v45, v23 bitop3:0x36
	v_pk_add_f32 v[48:49], v[32:33], v[36:37]
	v_pk_add_f32 v[32:33], v[36:37], v[32:33] neg_lo:[0,1] neg_hi:[0,1]
	v_pk_add_f32 v[30:31], v[30:31], v[38:39]
	s_barrier_signal -1
	v_pk_add_f32 v[34:35], v[34:35], v[42:43]
	v_dual_sub_f32 v56, v48, v54 :: v_dual_sub_f32 v57, v49, v55
	v_pk_add_f32 v[16:17], v[16:17], v[26:27]
	ds_bpermute_b32 v26, v19, v20
	ds_bpermute_b32 v27, v19, v21
	;; [unrolled: 1-line block ×8, first 2 shown]
	v_dual_sub_f32 v58, v32, v28 :: v_dual_sub_f32 v59, v33, v29
	v_dual_cndmask_b32 v21, -v21, v21, s6 :: v_dual_cndmask_b32 v20, -v20, v20, s6
	v_dual_cndmask_b32 v31, -v31, v31, s1 :: v_dual_cndmask_b32 v30, -v30, v30, s1
	;; [unrolled: 1-line block ×3, first 2 shown]
	ds_bpermute_b32 v36, v24, v56
	ds_bpermute_b32 v37, v24, v57
	;; [unrolled: 1-line block ×4, first 2 shown]
	v_dual_cndmask_b32 v17, -v17, v17, s6 :: v_dual_cndmask_b32 v16, -v16, v16, s6
	s_wait_dscnt 0xa
	v_pk_add_f32 v[20:21], v[20:21], v[26:27]
	s_wait_dscnt 0x8
	v_pk_add_f32 v[26:27], v[30:31], v[38:39]
	v_pk_add_f32 v[48:49], v[54:55], v[48:49]
	s_wait_dscnt 0x6
	v_pk_add_f32 v[30:31], v[34:35], v[42:43]
	;; [unrolled: 3-line block ×3, first 2 shown]
	v_dual_cndmask_b32 v45, -v57, v57, s4 :: v_dual_cndmask_b32 v44, -v56, v56, s4
	ds_bpermute_b32 v42, v19, v30
	ds_bpermute_b32 v43, v19, v31
	v_dual_cndmask_b32 v57, -v59, v59, s4 :: v_dual_cndmask_b32 v56, -v58, v58, s4
	ds_bpermute_b32 v38, v19, v26
	ds_bpermute_b32 v39, v19, v27
	;; [unrolled: 1-line block ×3, first 2 shown]
	s_wait_dscnt 0x7
	v_pk_add_f32 v[36:37], v[44:45], v[36:37]
	v_dual_cndmask_b32 v21, -v21, v21, s7 :: v_dual_cndmask_b32 v31, -v31, v31, s6
	s_wait_dscnt 0x5
	v_pk_add_f32 v[40:41], v[56:57], v[40:41]
	v_dual_cndmask_b32 v30, -v30, v30, s6 :: v_dual_cndmask_b32 v27, -v27, v27, s6
	ds_bpermute_b32 v56, v1, v36
	ds_bpermute_b32 v57, v1, v37
	;; [unrolled: 1-line block ×7, first 2 shown]
	v_dual_cndmask_b32 v26, -v26, v26, s6 :: v_dual_cndmask_b32 v20, -v20, v20, s7
	s_wait_dscnt 0xa
	v_pk_add_f32 v[30:31], v[30:31], v[42:43]
	ds_bpermute_b32 v62, v24, v48
	ds_bpermute_b32 v63, v24, v49
	s_wait_dscnt 0xa
	v_pk_add_f32 v[38:39], v[26:27], v[38:39]
	v_dual_cndmask_b32 v27, -v37, v37, s5 :: v_dual_cndmask_b32 v26, -v36, v36, s5
	ds_bpermute_b32 v42, v53, v30
	ds_bpermute_b32 v43, v53, v31
	v_dual_cndmask_b32 v37, -v41, v41, s5 :: v_dual_cndmask_b32 v36, -v40, v40, s5
	ds_bpermute_b32 v40, v53, v38
	ds_bpermute_b32 v41, v53, v39
	s_wait_dscnt 0xb
	v_pk_add_f32 v[56:57], v[26:27], v[56:57]
	ds_bpermute_b32 v64, v24, v54
	s_wait_dscnt 0xa
	v_pk_add_f32 v[36:37], v[36:37], v[58:59]
	ds_bpermute_b32 v65, v24, v55
	v_dual_cndmask_b32 v17, -v17, v17, s7 :: v_dual_cndmask_b32 v16, -v16, v16, s7
	ds_bpermute_b32 v58, v18, v56
	ds_bpermute_b32 v60, v18, v36
	;; [unrolled: 1-line block ×4, first 2 shown]
	v_dual_cndmask_b32 v31, -v31, v31, s7 :: v_dual_cndmask_b32 v30, -v30, v30, s7
	s_wait_dscnt 0xc
	v_pk_add_f32 v[28:29], v[16:17], v[44:45]
	v_pk_add_f32 v[26:27], v[20:21], v[34:35]
	v_cndmask_b32_e64 v21, -v57, v57, s1
	v_pk_add_f32 v[44:45], v[46:47], v[14:15]
	s_wait_dscnt 0x8
	v_pk_add_f32 v[32:33], v[30:31], v[42:43]
	v_dual_cndmask_b32 v31, -v49, v49, s4 :: v_dual_cndmask_b32 v30, -v48, v48, s4
	v_pk_add_f32 v[42:43], v[12:13], v[10:11]
	v_dual_cndmask_b32 v17, -v39, v39, s7 :: v_dual_cndmask_b32 v16, -v38, v38, s7
	v_dual_cndmask_b32 v35, -v37, v37, s1 :: v_dual_cndmask_b32 v39, -v55, v55, s4
	;; [unrolled: 1-line block ×3, first 2 shown]
	s_delay_alu instid0(VALU_DEP_4)
	v_sub_f32_e32 v54, v43, v45
	v_pk_add_f32 v[36:37], v[30:31], v[62:63]
	v_sub_f32_e32 v25, v42, v44
	s_wait_dscnt 0x6
	v_pk_add_f32 v[30:31], v[16:17], v[40:41]
	s_wait_dscnt 0x4
	v_pk_add_f32 v[16:17], v[38:39], v[64:65]
	v_pk_add_f32 v[10:11], v[10:11], v[12:13] neg_lo:[0,1] neg_hi:[0,1]
	ds_bpermute_b32 v39, v1, v37
	v_pk_add_f32 v[12:13], v[14:15], v[46:47] neg_lo:[0,1] neg_hi:[0,1]
	v_cndmask_b32_e64 v20, -v56, v56, s1
	ds_bpermute_b32 v47, v24, v54
	v_cndmask_b32_e64 v37, -v37, v37, s5
	ds_bpermute_b32 v46, v24, v25
	s_wait_dscnt 0x4
	v_pk_add_f32 v[34:35], v[34:35], v[60:61]
	s_wait_dscnt 0x3
	v_pk_add_f32 v[20:21], v[20:21], v[58:59]
	v_dual_sub_f32 v58, v11, v13 :: v_dual_sub_f32 v60, v10, v12
	ds_bpermute_b32 v38, v1, v36
	ds_bpermute_b32 v41, v1, v17
	v_cndmask_b32_e64 v17, -v17, v17, s5
	ds_bpermute_b32 v49, v24, v58
	ds_bpermute_b32 v48, v24, v60
	;; [unrolled: 1-line block ×3, first 2 shown]
	v_dual_cndmask_b32 v16, -v16, v16, s5 :: v_dual_cndmask_b32 v55, -v54, v54, s4
	v_dual_cndmask_b32 v54, -v25, v25, s4 :: v_dual_cndmask_b32 v59, -v58, v58, s4
	v_cndmask_b32_e64 v36, -v36, v36, s5
	v_cndmask_b32_e64 v58, -v60, v60, s4
	ds_bpermute_b32 v15, v19, v21
	v_cndmask_b32_e64 v21, -v21, v21, s6
	ds_bpermute_b32 v14, v19, v20
	s_wait_dscnt 0x7
	v_pk_add_f32 v[46:47], v[54:55], v[46:47]
	s_barrier_wait -1
	s_wait_dscnt 0x0
	ds_store_b128 v22, v[30:33]
	ds_store_b128 v22, v[26:29] offset:4096
	v_cndmask_b32_e64 v20, -v20, v20, s6
	ds_bpermute_b32 v54, v1, v46
	ds_bpermute_b32 v55, v1, v47
	v_pk_add_f32 v[36:37], v[36:37], v[38:39]
	ds_bpermute_b32 v38, v19, v34
	ds_bpermute_b32 v39, v19, v35
	v_cndmask_b32_e64 v35, -v35, v35, s6
	v_pk_add_f32 v[48:49], v[58:59], v[48:49]
	v_pk_add_f32 v[16:17], v[16:17], v[40:41]
	ds_bpermute_b32 v40, v18, v36
	ds_bpermute_b32 v41, v18, v37
	v_dual_cndmask_b32 v31, -v47, v47, s5 :: v_dual_cndmask_b32 v30, -v46, v46, s5
	ds_bpermute_b32 v58, v1, v48
	ds_bpermute_b32 v59, v1, v49
	v_cndmask_b32_e64 v34, -v34, v34, s6
	ds_bpermute_b32 v56, v18, v16
	ds_bpermute_b32 v57, v18, v17
	v_pk_add_f32 v[14:15], v[20:21], v[14:15]
	v_dual_cndmask_b32 v21, -v37, v37, s1 :: v_dual_cndmask_b32 v16, -v16, v16, s1
	v_dual_cndmask_b32 v17, -v17, v17, s1 :: v_dual_cndmask_b32 v20, -v36, v36, s1
	s_wait_dscnt 0x8
	v_pk_add_f32 v[30:31], v[30:31], v[54:55]
	ds_bpermute_b32 v28, v53, v14
	s_wait_dscnt 0x7
	v_pk_add_f32 v[26:27], v[34:35], v[38:39]
	v_dual_cndmask_b32 v35, -v49, v49, s5 :: v_dual_cndmask_b32 v34, -v48, v48, s5
	ds_bpermute_b32 v38, v18, v30
	ds_bpermute_b32 v39, v18, v31
	s_wait_dscnt 0x7
	v_pk_add_f32 v[20:21], v[20:21], v[40:41]
	ds_bpermute_b32 v29, v53, v15
	v_pk_add_f32 v[42:43], v[44:45], v[42:43]
	v_dual_cndmask_b32 v31, -v31, v31, s1 :: v_dual_cndmask_b32 v30, -v30, v30, s1
	s_wait_dscnt 0x6
	v_pk_add_f32 v[34:35], v[34:35], v[58:59]
	ds_bpermute_b32 v36, v19, v20
	ds_bpermute_b32 v37, v19, v21
	;; [unrolled: 1-line block ×6, first 2 shown]
	s_wait_dscnt 0xa
	v_pk_add_f32 v[16:17], v[16:17], v[56:57]
	ds_bpermute_b32 v40, v53, v26
	ds_bpermute_b32 v41, v53, v27
	v_dual_cndmask_b32 v15, -v15, v15, s7 :: v_dual_cndmask_b32 v14, -v14, v14, s7
	ds_bpermute_b32 v32, v19, v16
	v_cndmask_b32_e64 v16, -v16, v16, s6
	s_wait_dscnt 0xa
	v_pk_add_f32 v[30:31], v[30:31], v[38:39]
	v_dual_cndmask_b32 v35, -v35, v35, s1 :: v_dual_cndmask_b32 v34, -v34, v34, s1
	ds_bpermute_b32 v33, v19, v17
	v_cndmask_b32_e64 v17, -v17, v17, s6
	ds_bpermute_b32 v38, v19, v30
	ds_bpermute_b32 v39, v19, v31
	v_dual_cndmask_b32 v27, -v27, v27, s7 :: v_dual_cndmask_b32 v21, -v21, v21, s6
	v_dual_cndmask_b32 v20, -v20, v20, s6 :: v_dual_cndmask_b32 v26, -v26, v26, s7
	v_pk_add_f32 v[44:45], v[12:13], v[10:11]
	s_wait_dscnt 0x6
	v_pk_add_f32 v[34:35], v[34:35], v[46:47]
	v_pk_add_f32 v[10:11], v[14:15], v[28:29]
	v_dual_cndmask_b32 v29, -v43, v43, s4 :: v_dual_cndmask_b32 v28, -v42, v42, s4
	v_pk_add_f32 v[20:21], v[20:21], v[36:37]
	ds_bpermute_b32 v46, v19, v34
	ds_bpermute_b32 v47, v19, v35
	;; [unrolled: 1-line block ×4, first 2 shown]
	v_pk_add_f32 v[28:29], v[28:29], v[48:49]
	ds_bpermute_b32 v36, v53, v20
	ds_bpermute_b32 v37, v53, v21
	s_wait_dscnt 0xa
	v_pk_add_f32 v[12:13], v[26:27], v[40:41]
	v_dual_cndmask_b32 v15, -v21, v21, s7 :: v_dual_cndmask_b32 v14, -v20, v20, s7
	v_dual_cndmask_b32 v21, -v31, v31, s6 :: v_dual_cndmask_b32 v20, -v30, v30, s6
	;; [unrolled: 1-line block ×3, first 2 shown]
	ds_bpermute_b32 v34, v1, v28
	ds_bpermute_b32 v35, v1, v29
	s_wait_dscnt 0x8
	v_pk_add_f32 v[20:21], v[20:21], v[38:39]
	v_pk_add_f32 v[38:39], v[4:5], v[2:3]
	v_pk_add_f32 v[40:41], v[8:9], v[6:7]
	v_dual_cndmask_b32 v31, -v45, v45, s4 :: v_dual_cndmask_b32 v30, -v44, v44, s4
	v_pk_add_f32 v[2:3], v[2:3], v[4:5] neg_lo:[0,1] neg_hi:[0,1]
	v_pk_add_f32 v[4:5], v[6:7], v[8:9] neg_lo:[0,1] neg_hi:[0,1]
	s_delay_alu instid0(VALU_DEP_4)
	v_dual_cndmask_b32 v7, -v29, v29, s5 :: v_dual_sub_f32 v25, v38, v40
	v_sub_f32_e32 v44, v39, v41
	s_wait_dscnt 0x6
	v_pk_add_f32 v[26:27], v[26:27], v[46:47]
	s_wait_dscnt 0x4
	v_pk_add_f32 v[30:31], v[30:31], v[54:55]
	v_dual_sub_f32 v45, v2, v4 :: v_dual_sub_f32 v46, v3, v5
	v_cndmask_b32_e64 v6, -v28, v28, s5
	ds_bpermute_b32 v8, v24, v25
	ds_bpermute_b32 v9, v24, v44
	v_pk_add_f32 v[38:39], v[40:41], v[38:39]
	v_pk_add_f32 v[2:3], v[4:5], v[2:3]
	s_wait_dscnt 0x4
	v_pk_add_f32 v[14:15], v[14:15], v[36:37]
	ds_bpermute_b32 v36, v1, v30
	ds_bpermute_b32 v37, v1, v31
	;; [unrolled: 1-line block ×4, first 2 shown]
	s_wait_dscnt 0x6
	v_pk_add_f32 v[6:7], v[6:7], v[34:35]
	v_dual_cndmask_b32 v35, -v44, v44, s4 :: v_dual_cndmask_b32 v34, -v25, v25, s4
	v_dual_cndmask_b32 v5, -v46, v46, s4 :: v_dual_cndmask_b32 v4, -v45, v45, s4
	ds_bpermute_b32 v40, v24, v38
	ds_bpermute_b32 v41, v24, v39
	;; [unrolled: 1-line block ×4, first 2 shown]
	v_pk_add_f32 v[16:17], v[16:17], v[32:33]
	v_dual_cndmask_b32 v31, -v31, v31, s5 :: v_dual_cndmask_b32 v30, -v30, v30, s5
	s_wait_dscnt 0x8
	v_pk_add_f32 v[8:9], v[34:35], v[8:9]
	v_dual_cndmask_b32 v39, -v39, v39, s4 :: v_dual_cndmask_b32 v38, -v38, v38, s4
	ds_bpermute_b32 v32, v53, v16
	ds_bpermute_b32 v33, v53, v17
	v_dual_cndmask_b32 v3, -v3, v3, s4 :: v_dual_cndmask_b32 v2, -v2, v2, s4
	s_wait_dscnt 0x8
	v_pk_add_f32 v[30:31], v[30:31], v[36:37]
	ds_bpermute_b32 v36, v18, v6
	ds_bpermute_b32 v37, v18, v7
	s_wait_dscnt 0x8
	v_pk_add_f32 v[4:5], v[4:5], v[28:29]
	ds_bpermute_b32 v34, v1, v8
	ds_bpermute_b32 v35, v1, v9
	;; [unrolled: 1-line block ×3, first 2 shown]
	s_wait_dscnt 0x9
	v_pk_add_f32 v[38:39], v[38:39], v[40:41]
	ds_bpermute_b32 v29, v18, v31
	s_wait_dscnt 0x8
	v_pk_add_f32 v[2:3], v[2:3], v[44:45]
	ds_bpermute_b32 v46, v1, v4
	ds_bpermute_b32 v47, v1, v5
	;; [unrolled: 1-line block ×6, first 2 shown]
	v_dual_cndmask_b32 v17, -v17, v17, s7 :: v_dual_cndmask_b32 v16, -v16, v16, s7
	v_dual_cndmask_b32 v7, -v7, v7, s1 :: v_dual_cndmask_b32 v9, -v9, v9, s5
	;; [unrolled: 1-line block ×3, first 2 shown]
	s_wait_dscnt 0xc
	s_delay_alu instid0(VALU_DEP_3)
	v_pk_add_f32 v[16:17], v[16:17], v[32:33]
	ds_bpermute_b32 v33, v53, v21
	v_cndmask_b32_e64 v21, -v21, v21, s7
	ds_bpermute_b32 v32, v53, v20
	v_dual_cndmask_b32 v5, -v5, v5, s5 :: v_dual_cndmask_b32 v4, -v4, v4, s5
	v_dual_cndmask_b32 v31, -v31, v31, s1 :: v_dual_cndmask_b32 v30, -v30, v30, s1
	s_wait_dscnt 0xa
	v_pk_add_f32 v[8:9], v[8:9], v[34:35]
	v_cndmask_b32_e64 v20, -v20, v20, s7
	v_pk_add_f32 v[6:7], v[6:7], v[36:37]
	v_dual_cndmask_b32 v37, -v39, v39, s5 :: v_dual_cndmask_b32 v36, -v38, v38, s5
	v_dual_cndmask_b32 v3, -v3, v3, s5 :: v_dual_cndmask_b32 v2, -v2, v2, s5
	s_wait_dscnt 0x6
	v_pk_add_f32 v[4:5], v[4:5], v[46:47]
	v_pk_add_f32 v[28:29], v[30:31], v[28:29]
	ds_bpermute_b32 v30, v18, v8
	ds_bpermute_b32 v31, v18, v9
	s_wait_dscnt 0x6
	v_pk_add_f32 v[36:37], v[36:37], v[40:41]
	s_wait_dscnt 0x4
	v_pk_add_f32 v[2:3], v[2:3], v[44:45]
	ds_bpermute_b32 v34, v18, v4
	ds_bpermute_b32 v35, v18, v5
	;; [unrolled: 1-line block ×8, first 2 shown]
	v_dual_cndmask_b32 v7, -v7, v7, s6 :: v_dual_cndmask_b32 v9, -v9, v9, s1
	v_dual_cndmask_b32 v8, -v8, v8, s1 :: v_dual_cndmask_b32 v6, -v6, v6, s6
	v_dual_cndmask_b32 v5, -v5, v5, s1 :: v_dual_cndmask_b32 v4, -v4, v4, s1
	v_dual_cndmask_b32 v3, -v3, v3, s1 :: v_dual_cndmask_b32 v2, -v2, v2, s1
	ds_bpermute_b32 v40, v19, v28
	s_wait_dscnt 0x9
	v_pk_add_f32 v[8:9], v[8:9], v[30:31]
	v_dual_cndmask_b32 v31, -v37, v37, s1 :: v_dual_cndmask_b32 v30, -v36, v36, s1
	ds_bpermute_b32 v41, v19, v29
	s_wait_dscnt 0x8
	v_pk_add_f32 v[4:5], v[4:5], v[34:35]
	ds_bpermute_b32 v34, v19, v8
	ds_bpermute_b32 v35, v19, v9
	s_wait_dscnt 0x7
	v_pk_add_f32 v[30:31], v[30:31], v[44:45]
	v_dual_cndmask_b32 v9, -v9, v9, s6 :: v_dual_cndmask_b32 v8, -v8, v8, s6
	s_wait_dscnt 0x5
	v_pk_add_f32 v[2:3], v[2:3], v[46:47]
	s_wait_dscnt 0x4
	v_pk_add_f32 v[6:7], v[6:7], v[38:39]
	ds_bpermute_b32 v38, v19, v30
	ds_bpermute_b32 v39, v19, v31
	;; [unrolled: 1-line block ×6, first 2 shown]
	v_dual_cndmask_b32 v29, -v29, v29, s6 :: v_dual_cndmask_b32 v28, -v28, v28, s6
	v_dual_cndmask_b32 v3, -v3, v3, s6 :: v_dual_cndmask_b32 v2, -v2, v2, s6
	;; [unrolled: 1-line block ×3, first 2 shown]
	s_wait_dscnt 0x8
	s_delay_alu instid0(VALU_DEP_3)
	v_pk_add_f32 v[28:29], v[28:29], v[40:41]
	ds_bpermute_b32 v42, v53, v26
	s_wait_dscnt 0x7
	v_pk_add_f32 v[34:35], v[8:9], v[34:35]
	v_dual_cndmask_b32 v9, -v31, v31, s6 :: v_dual_cndmask_b32 v8, -v30, v30, s6
	ds_bpermute_b32 v43, v53, v27
	ds_bpermute_b32 v40, v53, v6
	;; [unrolled: 1-line block ×4, first 2 shown]
	s_wait_dscnt 0x9
	v_pk_add_f32 v[38:39], v[8:9], v[38:39]
	ds_bpermute_b32 v41, v53, v7
	v_dual_cndmask_b32 v27, -v27, v27, s7 :: v_dual_cndmask_b32 v26, -v26, v26, s7
	s_wait_dscnt 0x7
	v_pk_add_f32 v[44:45], v[2:3], v[44:45]
	s_wait_dscnt 0x6
	v_pk_add_f32 v[30:31], v[4:5], v[36:37]
	ds_bpermute_b32 v54, v53, v38
	ds_bpermute_b32 v55, v53, v39
	;; [unrolled: 1-line block ×8, first 2 shown]
	v_dual_cndmask_b32 v9, -v29, v29, s7 :: v_dual_cndmask_b32 v8, -v28, v28, s7
	v_dual_cndmask_b32 v7, -v7, v7, s7 :: v_dual_cndmask_b32 v6, -v6, v6, s7
	s_wait_dscnt 0xc
	v_pk_add_f32 v[4:5], v[26:27], v[42:43]
	v_pk_add_f32 v[2:3], v[20:21], v[32:33]
	v_dual_cndmask_b32 v27, -v31, v31, s7 :: v_dual_cndmask_b32 v26, -v30, v30, s7
	v_dual_cndmask_b32 v31, -v39, v39, s7 :: v_dual_cndmask_b32 v33, -v45, v45, s7
	;; [unrolled: 1-line block ×4, first 2 shown]
	v_lshl_add_u32 v23, v23, 4, 0
	s_wait_dscnt 0x9
	v_pk_add_f32 v[8:9], v[8:9], v[46:47]
	s_wait_dscnt 0x8
	v_pk_add_f32 v[6:7], v[6:7], v[40:41]
	;; [unrolled: 2-line block ×3, first 2 shown]
	v_pk_add_f32 v[30:31], v[30:31], v[54:55]
	s_wait_dscnt 0x0
	v_pk_add_f32 v[28:29], v[26:27], v[48:49]
	v_pk_add_f32 v[26:27], v[20:21], v[36:37]
	ds_store_b128 v22, v[14:17] offset:8192
	ds_store_b128 v22, v[10:13] offset:12288
	;; [unrolled: 1-line block ×6, first 2 shown]
	s_wait_dscnt 0x0
	s_barrier_signal -1
	s_barrier_wait -1
	ds_load_b128 v[2:5], v23
	ds_load_b128 v[6:9], v23 offset:4096
	s_wait_kmcnt 0x0
	s_mov_b32 s9, s8
	s_wait_dscnt 0x1
	ds_bpermute_b32 v10, v24, v2
	ds_bpermute_b32 v11, v24, v3
	;; [unrolled: 1-line block ×4, first 2 shown]
	v_dual_cndmask_b32 v3, -v3, v3, s4 :: v_dual_cndmask_b32 v2, -v2, v2, s4
	v_dual_cndmask_b32 v5, -v5, v5, s4 :: v_dual_cndmask_b32 v4, -v4, v4, s4
	s_wait_dscnt 0x4
	ds_bpermute_b32 v16, v24, v8
	ds_bpermute_b32 v17, v24, v9
	;; [unrolled: 1-line block ×4, first 2 shown]
	v_dual_cndmask_b32 v9, -v9, v9, s4 :: v_dual_cndmask_b32 v8, -v8, v8, s4
	v_dual_cndmask_b32 v7, -v7, v7, s4 :: v_dual_cndmask_b32 v6, -v6, v6, s4
	s_wait_dscnt 0x6
	v_pk_add_f32 v[10:11], v[2:3], v[10:11]
	s_wait_dscnt 0x4
	v_pk_add_f32 v[12:13], v[4:5], v[12:13]
	ds_load_b128 v[2:5], v23 offset:8192
	ds_bpermute_b32 v14, v1, v10
	ds_bpermute_b32 v15, v1, v11
	;; [unrolled: 1-line block ×4, first 2 shown]
	v_dual_cndmask_b32 v11, -v11, v11, s5 :: v_dual_cndmask_b32 v10, -v10, v10, s5
	v_dual_cndmask_b32 v13, -v13, v13, s5 :: v_dual_cndmask_b32 v12, -v12, v12, s5
	s_wait_dscnt 0x7
	v_pk_add_f32 v[16:17], v[8:9], v[16:17]
	s_wait_dscnt 0x2
	v_pk_add_f32 v[10:11], v[10:11], v[14:15]
	v_pk_add_f32 v[14:15], v[6:7], v[26:27]
	s_wait_dscnt 0x0
	v_pk_add_f32 v[12:13], v[12:13], v[20:21]
	ds_bpermute_b32 v20, v1, v16
	ds_bpermute_b32 v21, v1, v17
	ds_load_b128 v[6:9], v23 offset:12288
	ds_bpermute_b32 v30, v1, v14
	ds_bpermute_b32 v31, v1, v15
	;; [unrolled: 1-line block ×10, first 2 shown]
	v_dual_cndmask_b32 v17, -v17, v17, s5 :: v_dual_cndmask_b32 v16, -v16, v16, s5
	v_dual_cndmask_b32 v15, -v15, v15, s5 :: v_dual_cndmask_b32 v14, -v14, v14, s5
	;; [unrolled: 1-line block ×4, first 2 shown]
	s_wait_dscnt 0xb
	v_pk_add_f32 v[16:17], v[16:17], v[20:21]
	v_dual_cndmask_b32 v5, -v5, v5, s4 :: v_dual_cndmask_b32 v4, -v4, v4, s4
	s_wait_dscnt 0x8
	v_pk_add_f32 v[14:15], v[14:15], v[30:31]
	ds_bpermute_b32 v38, v24, v6
	ds_bpermute_b32 v20, v18, v16
	ds_bpermute_b32 v21, v18, v17
	ds_bpermute_b32 v39, v24, v7
	v_dual_cndmask_b32 v11, -v11, v11, s1 :: v_dual_cndmask_b32 v10, -v10, v10, s1
	s_wait_dscnt 0x9
	v_pk_add_f32 v[30:31], v[2:3], v[32:33]
	s_wait_dscnt 0x7
	v_pk_add_f32 v[32:33], v[4:5], v[34:35]
	;; [unrolled: 2-line block ×3, first 2 shown]
	ds_bpermute_b32 v28, v18, v14
	ds_bpermute_b32 v29, v18, v15
	;; [unrolled: 1-line block ×8, first 2 shown]
	s_wait_dscnt 0xc
	v_pk_add_f32 v[2:3], v[10:11], v[26:27]
	ds_load_b128 v[10:13], v23 offset:16384
	v_dual_cndmask_b32 v17, -v17, v17, s1 :: v_dual_cndmask_b32 v16, -v16, v16, s1
	v_dual_cndmask_b32 v7, -v7, v7, s4 :: v_dual_cndmask_b32 v6, -v6, v6, s4
	;; [unrolled: 1-line block ×3, first 2 shown]
	s_wait_dscnt 0xa
	s_delay_alu instid0(VALU_DEP_3)
	v_pk_add_f32 v[16:17], v[16:17], v[20:21]
	v_dual_cndmask_b32 v21, -v31, v31, s5 :: v_dual_cndmask_b32 v27, -v33, v33, s5
	v_dual_cndmask_b32 v9, -v9, v9, s4 :: v_dual_cndmask_b32 v8, -v8, v8, s4
	v_dual_cndmask_b32 v26, -v32, v32, s5 :: v_dual_cndmask_b32 v20, -v30, v30, s5
	s_wait_dscnt 0x9
	v_pk_add_f32 v[30:31], v[6:7], v[38:39]
	s_wait_dscnt 0x7
	v_pk_add_f32 v[14:15], v[14:15], v[28:29]
	;; [unrolled: 2-line block ×5, first 2 shown]
	ds_bpermute_b32 v32, v1, v30
	ds_bpermute_b32 v33, v1, v31
	;; [unrolled: 1-line block ×4, first 2 shown]
	ds_load_b128 v[6:9], v23 offset:20480
	s_wait_dscnt 0x5
	ds_bpermute_b32 v36, v24, v10
	ds_bpermute_b32 v37, v24, v11
	;; [unrolled: 1-line block ×5, first 2 shown]
	v_dual_cndmask_b32 v26, -v26, v26, s1 :: v_dual_cndmask_b32 v31, -v31, v31, s5
	v_dual_cndmask_b32 v30, -v30, v30, s5 :: v_dual_cndmask_b32 v29, -v29, v29, s5
	;; [unrolled: 1-line block ×4, first 2 shown]
	ds_bpermute_b32 v43, v18, v27
	ds_bpermute_b32 v38, v18, v20
	ds_bpermute_b32 v39, v18, v21
	s_wait_dscnt 0xb
	v_pk_add_f32 v[30:31], v[30:31], v[32:33]
	v_cndmask_b32_e64 v12, -v12, v12, s4
	s_wait_dscnt 0x9
	v_pk_add_f32 v[32:33], v[28:29], v[34:35]
	v_dual_cndmask_b32 v21, -v21, v21, s1 :: v_dual_cndmask_b32 v27, -v27, v27, s1
	s_wait_dscnt 0x6
	v_pk_add_f32 v[10:11], v[10:11], v[36:37]
	ds_bpermute_b32 v35, v18, v31
	v_cndmask_b32_e64 v31, -v31, v31, s1
	s_wait_dscnt 0x5
	v_pk_add_f32 v[36:37], v[12:13], v[40:41]
	ds_bpermute_b32 v34, v18, v30
	v_dual_cndmask_b32 v20, -v20, v20, s1 :: v_dual_cndmask_b32 v30, -v30, v30, s1
	ds_bpermute_b32 v48, v24, v6
	ds_bpermute_b32 v46, v1, v36
	;; [unrolled: 1-line block ×4, first 2 shown]
	v_dual_cndmask_b32 v37, -v37, v37, s5 :: v_dual_cndmask_b32 v36, -v36, v36, s5
	s_wait_dscnt 0x8
	v_pk_add_f32 v[12:13], v[26:27], v[42:43]
	ds_load_b128 v[26:29], v23 offset:24576
	ds_bpermute_b32 v44, v1, v10
	ds_bpermute_b32 v45, v1, v11
	;; [unrolled: 1-line block ×3, first 2 shown]
	v_dual_cndmask_b32 v33, -v33, v33, s1 :: v_dual_cndmask_b32 v43, -v11, v11, s5
	v_cndmask_b32_e64 v42, -v10, v10, s5
	s_wait_dscnt 0xa
	v_pk_add_f32 v[10:11], v[20:21], v[38:39]
	ds_bpermute_b32 v54, v24, v8
	v_cndmask_b32_e64 v7, -v7, v7, s4
	s_wait_dscnt 0x9
	v_pk_add_f32 v[30:31], v[30:31], v[34:35]
	v_dual_cndmask_b32 v8, -v8, v8, s4 :: v_dual_cndmask_b32 v6, -v6, v6, s4
	ds_bpermute_b32 v55, v24, v9
	v_cndmask_b32_e64 v9, -v9, v9, s4
	s_wait_dscnt 0x7
	v_pk_add_f32 v[38:39], v[36:37], v[46:47]
	ds_load_b128 v[34:37], v23 offset:28672
	s_wait_dscnt 0x7
	v_pk_add_f32 v[6:7], v[6:7], v[48:49]
	ds_bpermute_b32 v40, v18, v32
	v_cndmask_b32_e64 v32, -v32, v32, s1
	s_wait_dscnt 0x7
	ds_bpermute_b32 v46, v24, v28
	ds_bpermute_b32 v47, v24, v29
	s_wait_dscnt 0x7
	v_pk_add_f32 v[20:21], v[42:43], v[44:45]
	ds_bpermute_b32 v44, v24, v26
	ds_bpermute_b32 v45, v24, v27
	;; [unrolled: 1-line block ×4, first 2 shown]
	v_dual_cndmask_b32 v7, -v7, v7, s5 :: v_dual_cndmask_b32 v29, -v29, v29, s4
	v_dual_cndmask_b32 v25, -v27, v27, s4 :: v_dual_cndmask_b32 v28, -v28, v28, s4
	ds_bpermute_b32 v42, v18, v38
	ds_bpermute_b32 v43, v18, v39
	s_wait_dscnt 0xa
	v_pk_add_f32 v[8:9], v[8:9], v[54:55]
	v_dual_cndmask_b32 v6, -v6, v6, s5 :: v_dual_cndmask_b32 v39, -v39, v39, s1
	v_cndmask_b32_e64 v38, -v38, v38, s1
	s_wait_dscnt 0x9
	ds_bpermute_b32 v56, v24, v34
	ds_bpermute_b32 v57, v24, v35
	;; [unrolled: 1-line block ×4, first 2 shown]
	v_cndmask_b32_e64 v24, -v26, v26, s4
	s_wait_dscnt 0xa
	v_pk_add_f32 v[26:27], v[28:29], v[46:47]
	v_dual_cndmask_b32 v29, -v35, v35, s4 :: v_dual_cndmask_b32 v28, -v34, v34, s4
	v_dual_cndmask_b32 v35, -v37, v37, s4 :: v_dual_cndmask_b32 v34, -v36, v36, s4
	ds_bpermute_b32 v55, v1, v9
	v_cndmask_b32_e64 v9, -v9, v9, s5
	s_wait_dscnt 0x9
	v_pk_add_f32 v[24:25], v[24:25], v[44:45]
	ds_bpermute_b32 v54, v1, v8
	v_cndmask_b32_e64 v8, -v8, v8, s5
	s_wait_dscnt 0x8
	v_pk_add_f32 v[44:45], v[6:7], v[48:49]
	v_pk_add_f32 v[32:33], v[32:33], v[40:41]
	ds_bpermute_b32 v36, v1, v24
	ds_bpermute_b32 v37, v1, v25
	v_dual_cndmask_b32 v25, -v25, v25, s5 :: v_dual_cndmask_b32 v24, -v24, v24, s5
	s_wait_dscnt 0x6
	v_pk_add_f32 v[28:29], v[28:29], v[56:57]
	ds_bpermute_b32 v40, v18, v20
	s_wait_dscnt 0x5
	v_pk_add_f32 v[6:7], v[34:35], v[58:59]
	ds_bpermute_b32 v34, v1, v26
	ds_bpermute_b32 v35, v1, v27
	;; [unrolled: 1-line block ×6, first 2 shown]
	v_dual_cndmask_b32 v27, -v27, v27, s5 :: v_dual_cndmask_b32 v26, -v26, v26, s5
	v_dual_cndmask_b32 v29, -v29, v29, s5 :: v_dual_cndmask_b32 v28, -v28, v28, s5
	;; [unrolled: 1-line block ×3, first 2 shown]
	s_wait_dscnt 0x9
	v_pk_add_f32 v[8:9], v[8:9], v[54:55]
	ds_bpermute_b32 v41, v18, v21
	s_wait_dscnt 0x8
	v_pk_add_f32 v[24:25], v[24:25], v[36:37]
	ds_bpermute_b32 v54, v18, v44
	ds_bpermute_b32 v55, v18, v45
	;; [unrolled: 1-line block ×4, first 2 shown]
	v_dual_cndmask_b32 v21, -v21, v21, s1 :: v_dual_cndmask_b32 v20, -v20, v20, s1
	s_wait_dscnt 0x9
	v_pk_add_f32 v[26:27], v[26:27], v[34:35]
	ds_bpermute_b32 v34, v18, v24
	s_wait_dscnt 0x8
	v_pk_add_f32 v[28:29], v[28:29], v[46:47]
	ds_bpermute_b32 v35, v18, v25
	s_wait_dscnt 0x7
	v_pk_add_f32 v[36:37], v[6:7], v[48:49]
	ds_bpermute_b32 v46, v18, v26
	ds_bpermute_b32 v47, v18, v27
	ds_bpermute_b32 v48, v18, v28
	;; [unrolled: 1-line block ×5, first 2 shown]
	v_dual_cndmask_b32 v19, -v9, v9, s1 :: v_dual_cndmask_b32 v18, -v8, v8, s1
	v_pk_add_f32 v[8:9], v[38:39], v[42:43]
	v_dual_cndmask_b32 v39, -v45, v45, s1 :: v_dual_cndmask_b32 v38, -v44, v44, s1
	v_dual_cndmask_b32 v25, -v25, v25, s1 :: v_dual_cndmask_b32 v24, -v24, v24, s1
	;; [unrolled: 1-line block ×5, first 2 shown]
	s_wait_dscnt 0xc
	v_pk_add_f32 v[6:7], v[20:21], v[40:41]
	s_wait_dscnt 0x8
	v_pk_add_f32 v[20:21], v[18:19], v[56:57]
	v_pk_add_f32 v[18:19], v[38:39], v[54:55]
	s_wait_dscnt 0x4
	v_pk_add_f32 v[26:27], v[26:27], v[46:47]
	;; [unrolled: 3-line block ×3, first 2 shown]
	s_wait_dscnt 0x0
	v_pk_add_f32 v[36:37], v[36:37], v[58:59]
	s_barrier_signal -1
	s_barrier_wait -1
	ds_store_b128 v23, v[2:5]
	ds_store_b128 v23, v[14:17] offset:4096
	ds_store_b128 v23, v[10:13] offset:8192
	;; [unrolled: 1-line block ×7, first 2 shown]
	s_wait_dscnt 0x0
	s_barrier_signal -1
	s_barrier_wait -1
	ds_load_b128 v[10:13], v22
	ds_load_b128 v[14:17], v22 offset:8192
	ds_load_b128 v[2:5], v22 offset:16384
	;; [unrolled: 1-line block ×7, first 2 shown]
	s_mul_u64 s[4:5], s[10:11], s[16:17]
	s_delay_alu instid0(SALU_CYCLE_1) | instskip(NEXT) | instid1(SALU_CYCLE_1)
	s_lshl_b64 s[4:5], s[4:5], 1
	s_add_nc_u64 s[4:5], s[14:15], s[4:5]
	s_wait_dscnt 0x6
	v_pk_add_f32 v[44:45], v[12:13], v[16:17]
	v_pk_add_f32 v[42:43], v[10:11], v[14:15]
	s_wait_dscnt 0x4
	v_pk_add_f32 v[48:49], v[4:5], v[8:9]
	v_pk_add_f32 v[46:47], v[2:3], v[6:7]
	;; [unrolled: 3-line block ×4, first 2 shown]
	s_and_saveexec_b32 s1, s2
	s_cbranch_execz .LBB23_10
; %bb.9:
	s_mov_b32 s6, s8
	s_mov_b32 s7, s8
	v_mov_b64_e32 v[60:61], s[8:9]
	v_mov_b64_e32 v[58:59], s[6:7]
	v_pk_add_f32 v[54:55], v[44:45], v[48:49]
	v_pk_add_f32 v[56:57], v[42:43], v[46:47]
	;; [unrolled: 1-line block ×3, first 2 shown]
	s_delay_alu instid0(VALU_DEP_2) | instskip(NEXT) | instid1(VALU_DEP_4)
	v_pk_mul_f32 v[56:57], v[60:61], v[56:57]
	v_pk_mul_f32 v[54:55], v[58:59], v[54:55]
	s_delay_alu instid0(VALU_DEP_1) | instskip(NEXT) | instid1(VALU_DEP_3)
	v_cvt_pk_f16_f32 v55, v54, v55
	v_cvt_pk_f16_f32 v54, v56, v57
	v_pk_add_f32 v[56:57], v[36:37], v[40:41]
	s_delay_alu instid0(VALU_DEP_1) | instskip(SKIP_1) | instid1(VALU_DEP_2)
	v_pk_mul_f32 v[56:57], v[58:59], v[56:57]
	v_pk_mul_f32 v[58:59], v[60:61], v[62:63]
	v_cvt_pk_f16_f32 v57, v56, v57
	s_delay_alu instid0(VALU_DEP_2)
	v_cvt_pk_f16_f32 v56, v58, v59
	global_store_b128 v0, v[54:57], s[4:5] scale_offset
.LBB23_10:
	s_wait_xcnt 0x0
	s_or_b32 exec_lo, exec_lo, s1
	v_dual_sub_f32 v13, v13, v17 :: v_dual_sub_f32 v12, v12, v16
	v_dual_sub_f32 v1, v11, v15 :: v_dual_sub_f32 v0, v10, v14
	v_dual_sub_f32 v15, v5, v9 :: v_dual_sub_f32 v14, v4, v8
	v_dual_sub_f32 v7, v3, v7 :: v_dual_sub_f32 v6, v2, v6
	v_dual_sub_f32 v3, v29, v33 :: v_dual_sub_f32 v2, v28, v32
	v_dual_sub_f32 v5, v27, v31 :: v_dual_sub_f32 v4, v26, v30
	v_dual_sub_f32 v9, v21, v25 :: v_dual_sub_f32 v8, v20, v24
	v_dual_sub_f32 v11, v19, v23 :: v_dual_sub_f32 v10, v18, v22
	s_and_saveexec_b32 s1, vcc_lo
	s_cbranch_execnz .LBB23_14
; %bb.11:
	s_or_b32 exec_lo, exec_lo, s1
	s_and_saveexec_b32 s1, s3
	s_cbranch_execnz .LBB23_15
.LBB23_12:
	s_or_b32 exec_lo, exec_lo, s1
	s_and_saveexec_b32 s1, s0
	s_cbranch_execnz .LBB23_16
.LBB23_13:
	s_sendmsg sendmsg(MSG_DEALLOC_VGPRS)
	s_endpgm
.LBB23_14:
	s_mov_b32 s6, s8
	s_mov_b32 s7, s8
	v_mov_b64_e32 v[22:23], s[8:9]
	v_mov_b64_e32 v[20:21], s[6:7]
	v_pk_add_f32 v[16:17], v[12:13], v[14:15]
	v_pk_add_f32 v[18:19], v[0:1], v[6:7]
	;; [unrolled: 1-line block ×4, first 2 shown]
	s_delay_alu instid0(VALU_DEP_3) | instskip(SKIP_1) | instid1(VALU_DEP_4)
	v_pk_mul_f32 v[18:19], v[22:23], v[18:19]
	v_pk_mul_f32 v[16:17], v[20:21], v[16:17]
	;; [unrolled: 1-line block ×3, first 2 shown]
	s_delay_alu instid0(VALU_DEP_4) | instskip(NEXT) | instid1(VALU_DEP_3)
	v_pk_mul_f32 v[22:23], v[22:23], v[26:27]
	v_cvt_pk_f16_f32 v17, v16, v17
	v_cvt_pk_f16_f32 v16, v18, v19
	s_delay_alu instid0(VALU_DEP_4) | instskip(NEXT) | instid1(VALU_DEP_4)
	v_cvt_pk_f16_f32 v19, v20, v21
	v_cvt_pk_f16_f32 v18, v22, v23
	global_store_b128 v50, v[16:19], s[4:5] scale_offset
	s_wait_xcnt 0x0
	s_or_b32 exec_lo, exec_lo, s1
	s_and_saveexec_b32 s1, s3
	s_cbranch_execz .LBB23_12
.LBB23_15:
	s_mov_b32 s2, s8
	s_mov_b32 s3, s8
	v_mov_b64_e32 v[20:21], s[8:9]
	v_mov_b64_e32 v[22:23], s[2:3]
	v_dual_sub_f32 v17, v45, v49 :: v_dual_sub_f32 v16, v44, v48
	v_dual_sub_f32 v19, v43, v47 :: v_dual_sub_f32 v18, v42, v46
	;; [unrolled: 1-line block ×4, first 2 shown]
	s_delay_alu instid0(VALU_DEP_4) | instskip(NEXT) | instid1(VALU_DEP_4)
	v_pk_mul_f32 v[16:17], v[22:23], v[16:17]
	v_pk_mul_f32 v[18:19], v[20:21], v[18:19]
	s_delay_alu instid0(VALU_DEP_4) | instskip(NEXT) | instid1(VALU_DEP_4)
	v_pk_mul_f32 v[22:23], v[22:23], v[24:25]
	v_pk_mul_f32 v[20:21], v[20:21], v[26:27]
	s_delay_alu instid0(VALU_DEP_4) | instskip(NEXT) | instid1(VALU_DEP_4)
	v_cvt_pk_f16_f32 v17, v16, v17
	v_cvt_pk_f16_f32 v16, v18, v19
	s_delay_alu instid0(VALU_DEP_4) | instskip(NEXT) | instid1(VALU_DEP_4)
	v_cvt_pk_f16_f32 v19, v22, v23
	v_cvt_pk_f16_f32 v18, v20, v21
	global_store_b128 v51, v[16:19], s[4:5] scale_offset
	s_wait_xcnt 0x0
	s_or_b32 exec_lo, exec_lo, s1
	s_and_saveexec_b32 s1, s0
	s_cbranch_execz .LBB23_13
.LBB23_16:
	v_dual_sub_f32 v13, v13, v15 :: v_dual_sub_f32 v12, v12, v14
	v_mov_b64_e32 v[14:15], s[8:9]
	s_mov_b32 s9, s8
	v_dual_sub_f32 v1, v1, v7 :: v_dual_sub_f32 v0, v0, v6
	v_mov_b64_e32 v[6:7], s[8:9]
	v_dual_sub_f32 v3, v3, v9 :: v_dual_sub_f32 v2, v2, v8
	v_dual_sub_f32 v5, v5, v11 :: v_dual_sub_f32 v4, v4, v10
	s_delay_alu instid0(VALU_DEP_4) | instskip(NEXT) | instid1(VALU_DEP_4)
	v_pk_mul_f32 v[10:11], v[14:15], v[0:1]
	v_pk_mul_f32 v[8:9], v[6:7], v[12:13]
	s_delay_alu instid0(VALU_DEP_4) | instskip(NEXT) | instid1(VALU_DEP_4)
	v_pk_mul_f32 v[2:3], v[6:7], v[2:3]
	v_pk_mul_f32 v[4:5], v[14:15], v[4:5]
	s_delay_alu instid0(VALU_DEP_4) | instskip(NEXT) | instid1(VALU_DEP_4)
	v_cvt_pk_f16_f32 v0, v10, v11
	v_cvt_pk_f16_f32 v1, v8, v9
	s_delay_alu instid0(VALU_DEP_4) | instskip(NEXT) | instid1(VALU_DEP_4)
	v_cvt_pk_f16_f32 v3, v2, v3
	v_cvt_pk_f16_f32 v2, v4, v5
	global_store_b128 v52, v[0:3], s[4:5] scale_offset
	s_sendmsg sendmsg(MSG_DEALLOC_VGPRS)
	s_endpgm
	.section	.rodata,"a",@progbits
	.p2align	6, 0x0
	.amdhsa_kernel _Z30fast_hadamard_transform_kernelI37fast_hadamard_transform_kernel_traitsILi256ELi13E6__halfEEv18HadamardParamsBase
		.amdhsa_group_segment_fixed_size 0
		.amdhsa_private_segment_fixed_size 0
		.amdhsa_kernarg_size 312
		.amdhsa_user_sgpr_count 2
		.amdhsa_user_sgpr_dispatch_ptr 0
		.amdhsa_user_sgpr_queue_ptr 0
		.amdhsa_user_sgpr_kernarg_segment_ptr 1
		.amdhsa_user_sgpr_dispatch_id 0
		.amdhsa_user_sgpr_kernarg_preload_length 0
		.amdhsa_user_sgpr_kernarg_preload_offset 0
		.amdhsa_user_sgpr_private_segment_size 0
		.amdhsa_wavefront_size32 1
		.amdhsa_uses_dynamic_stack 0
		.amdhsa_enable_private_segment 0
		.amdhsa_system_sgpr_workgroup_id_x 1
		.amdhsa_system_sgpr_workgroup_id_y 0
		.amdhsa_system_sgpr_workgroup_id_z 0
		.amdhsa_system_sgpr_workgroup_info 0
		.amdhsa_system_vgpr_workitem_id 0
		.amdhsa_next_free_vgpr 66
		.amdhsa_next_free_sgpr 18
		.amdhsa_named_barrier_count 0
		.amdhsa_reserve_vcc 1
		.amdhsa_float_round_mode_32 0
		.amdhsa_float_round_mode_16_64 0
		.amdhsa_float_denorm_mode_32 3
		.amdhsa_float_denorm_mode_16_64 3
		.amdhsa_fp16_overflow 0
		.amdhsa_memory_ordered 1
		.amdhsa_forward_progress 1
		.amdhsa_inst_pref_size 61
		.amdhsa_round_robin_scheduling 0
		.amdhsa_exception_fp_ieee_invalid_op 0
		.amdhsa_exception_fp_denorm_src 0
		.amdhsa_exception_fp_ieee_div_zero 0
		.amdhsa_exception_fp_ieee_overflow 0
		.amdhsa_exception_fp_ieee_underflow 0
		.amdhsa_exception_fp_ieee_inexact 0
		.amdhsa_exception_int_div_zero 0
	.end_amdhsa_kernel
	.section	.text._Z30fast_hadamard_transform_kernelI37fast_hadamard_transform_kernel_traitsILi256ELi13E6__halfEEv18HadamardParamsBase,"axG",@progbits,_Z30fast_hadamard_transform_kernelI37fast_hadamard_transform_kernel_traitsILi256ELi13E6__halfEEv18HadamardParamsBase,comdat
.Lfunc_end23:
	.size	_Z30fast_hadamard_transform_kernelI37fast_hadamard_transform_kernel_traitsILi256ELi13E6__halfEEv18HadamardParamsBase, .Lfunc_end23-_Z30fast_hadamard_transform_kernelI37fast_hadamard_transform_kernel_traitsILi256ELi13E6__halfEEv18HadamardParamsBase
                                        ; -- End function
	.set _Z30fast_hadamard_transform_kernelI37fast_hadamard_transform_kernel_traitsILi256ELi13E6__halfEEv18HadamardParamsBase.num_vgpr, 66
	.set _Z30fast_hadamard_transform_kernelI37fast_hadamard_transform_kernel_traitsILi256ELi13E6__halfEEv18HadamardParamsBase.num_agpr, 0
	.set _Z30fast_hadamard_transform_kernelI37fast_hadamard_transform_kernel_traitsILi256ELi13E6__halfEEv18HadamardParamsBase.numbered_sgpr, 18
	.set _Z30fast_hadamard_transform_kernelI37fast_hadamard_transform_kernel_traitsILi256ELi13E6__halfEEv18HadamardParamsBase.num_named_barrier, 0
	.set _Z30fast_hadamard_transform_kernelI37fast_hadamard_transform_kernel_traitsILi256ELi13E6__halfEEv18HadamardParamsBase.private_seg_size, 0
	.set _Z30fast_hadamard_transform_kernelI37fast_hadamard_transform_kernel_traitsILi256ELi13E6__halfEEv18HadamardParamsBase.uses_vcc, 1
	.set _Z30fast_hadamard_transform_kernelI37fast_hadamard_transform_kernel_traitsILi256ELi13E6__halfEEv18HadamardParamsBase.uses_flat_scratch, 0
	.set _Z30fast_hadamard_transform_kernelI37fast_hadamard_transform_kernel_traitsILi256ELi13E6__halfEEv18HadamardParamsBase.has_dyn_sized_stack, 0
	.set _Z30fast_hadamard_transform_kernelI37fast_hadamard_transform_kernel_traitsILi256ELi13E6__halfEEv18HadamardParamsBase.has_recursion, 0
	.set _Z30fast_hadamard_transform_kernelI37fast_hadamard_transform_kernel_traitsILi256ELi13E6__halfEEv18HadamardParamsBase.has_indirect_call, 0
	.section	.AMDGPU.csdata,"",@progbits
; Kernel info:
; codeLenInByte = 7704
; TotalNumSgprs: 20
; NumVgprs: 66
; ScratchSize: 0
; MemoryBound: 0
; FloatMode: 240
; IeeeMode: 1
; LDSByteSize: 0 bytes/workgroup (compile time only)
; SGPRBlocks: 0
; VGPRBlocks: 4
; NumSGPRsForWavesPerEU: 20
; NumVGPRsForWavesPerEU: 66
; NamedBarCnt: 0
; Occupancy: 12
; WaveLimiterHint : 0
; COMPUTE_PGM_RSRC2:SCRATCH_EN: 0
; COMPUTE_PGM_RSRC2:USER_SGPR: 2
; COMPUTE_PGM_RSRC2:TRAP_HANDLER: 0
; COMPUTE_PGM_RSRC2:TGID_X_EN: 1
; COMPUTE_PGM_RSRC2:TGID_Y_EN: 0
; COMPUTE_PGM_RSRC2:TGID_Z_EN: 0
; COMPUTE_PGM_RSRC2:TIDIG_COMP_CNT: 0
	.section	.text._Z30fast_hadamard_transform_kernelI37fast_hadamard_transform_kernel_traitsILi256ELi14E6__halfEEv18HadamardParamsBase,"axG",@progbits,_Z30fast_hadamard_transform_kernelI37fast_hadamard_transform_kernel_traitsILi256ELi14E6__halfEEv18HadamardParamsBase,comdat
	.protected	_Z30fast_hadamard_transform_kernelI37fast_hadamard_transform_kernel_traitsILi256ELi14E6__halfEEv18HadamardParamsBase ; -- Begin function _Z30fast_hadamard_transform_kernelI37fast_hadamard_transform_kernel_traitsILi256ELi14E6__halfEEv18HadamardParamsBase
	.globl	_Z30fast_hadamard_transform_kernelI37fast_hadamard_transform_kernel_traitsILi256ELi14E6__halfEEv18HadamardParamsBase
	.p2align	8
	.type	_Z30fast_hadamard_transform_kernelI37fast_hadamard_transform_kernel_traitsILi256ELi14E6__halfEEv18HadamardParamsBase,@function
_Z30fast_hadamard_transform_kernelI37fast_hadamard_transform_kernel_traitsILi256ELi14E6__halfEEv18HadamardParamsBase: ; @_Z30fast_hadamard_transform_kernelI37fast_hadamard_transform_kernel_traitsILi256ELi14E6__halfEEv18HadamardParamsBase
; %bb.0:
	s_clause 0x1
	s_load_b128 s[16:19], s[0:1], 0x10
	s_load_b32 s10, s[0:1], 0x4
	s_bfe_u32 s2, ttmp6, 0x4000c
	s_load_b128 s[12:15], s[0:1], 0x28
	s_add_co_i32 s5, s2, 1
	s_load_b32 s2, s[0:1], 0x44
	s_and_b32 s3, ttmp6, 15
	s_mul_i32 s5, ttmp9, s5
	s_getreg_b32 s4, hwreg(HW_REG_IB_STS2, 6, 4)
	s_add_co_i32 s3, s3, s5
	s_cmp_eq_u32 s4, 0
	v_dual_mov_b32 v42, 0 :: v_dual_lshlrev_b32 v2, 3, v0
	s_cselect_b32 s20, ttmp9, s3
	v_dual_mov_b32 v1, 0 :: v_dual_mov_b32 v38, 0
	s_ashr_i32 s21, s20, 31
	v_dual_mov_b32 v39, 0 :: v_dual_mov_b32 v43, 0
	v_dual_mov_b32 v40, 0 :: v_dual_mov_b32 v44, 0
	s_wait_kmcnt 0x0
	s_mul_u64 s[4:5], s[16:17], s[20:21]
	v_cmp_gt_u32_e64 s7, s10, v2
	v_dual_mov_b32 v41, 0 :: v_dual_mov_b32 v45, 0
	s_lshl_b64 s[4:5], s[4:5], 1
	s_delay_alu instid0(SALU_CYCLE_1)
	s_add_nc_u64 s[8:9], s[12:13], s[4:5]
	s_and_saveexec_b32 s3, s7
	s_cbranch_execz .LBB24_2
; %bb.1:
	global_load_b128 v[2:5], v0, s[8:9] scale_offset
	s_wait_loadcnt 0x0
	v_cvt_f32_f16_e32 v41, v2
	v_lshrrev_b32_e32 v2, 16, v2
	v_cvt_f32_f16_e32 v40, v3
	v_lshrrev_b32_e32 v3, 16, v3
	v_cvt_f32_f16_e32 v39, v4
	v_dual_lshrrev_b32 v4, 16, v4 :: v_dual_lshrrev_b32 v6, 16, v5
	v_cvt_f32_f16_e32 v38, v5
	v_cvt_f32_f16_e32 v45, v2
	v_cvt_f32_f16_e32 v44, v3
	s_delay_alu instid0(VALU_DEP_4)
	v_cvt_f32_f16_e32 v43, v4
	v_cvt_f32_f16_e32 v42, v6
.LBB24_2:
	s_or_b32 exec_lo, exec_lo, s3
	s_and_b32 s11, 0xffff, s2
	v_dual_mov_b32 v50, 0 :: v_dual_mov_b32 v47, 0
	v_dual_add_nc_u32 v133, s11, v0 :: v_dual_mov_b32 v49, 0
	v_dual_mov_b32 v46, 0 :: v_dual_mov_b32 v51, 0
	s_delay_alu instid0(VALU_DEP_2) | instskip(SKIP_1) | instid1(VALU_DEP_2)
	v_dual_mov_b32 v48, 0 :: v_dual_lshlrev_b32 v2, 3, v133
	v_mov_b32_e32 v52, 0
	v_cmp_gt_u32_e64 s5, s10, v2
	s_and_saveexec_b32 s2, s5
	s_cbranch_execz .LBB24_4
; %bb.3:
	global_load_b128 v[2:5], v133, s[8:9] scale_offset
	s_wait_loadcnt 0x0
	v_cvt_f32_f16_e32 v48, v2
	v_lshrrev_b32_e32 v2, 16, v2
	v_cvt_f32_f16_e32 v47, v3
	v_lshrrev_b32_e32 v3, 16, v3
	v_cvt_f32_f16_e32 v46, v4
	v_dual_lshrrev_b32 v4, 16, v4 :: v_dual_lshrrev_b32 v6, 16, v5
	v_cvt_f32_f16_e32 v1, v5
	v_cvt_f32_f16_e32 v52, v2
	;; [unrolled: 1-line block ×3, first 2 shown]
	s_delay_alu instid0(VALU_DEP_4)
	v_cvt_f32_f16_e32 v50, v4
	v_cvt_f32_f16_e32 v49, v6
.LBB24_4:
	s_or_b32 exec_lo, exec_lo, s2
	v_dual_mov_b32 v53, 0 :: v_dual_add_nc_u32 v130, s11, v133
	v_dual_mov_b32 v54, 0 :: v_dual_mov_b32 v55, 0
	s_delay_alu instid0(VALU_DEP_2) | instskip(SKIP_2) | instid1(VALU_DEP_3)
	v_dual_mov_b32 v58, 0 :: v_dual_lshlrev_b32 v2, 3, v130
	v_dual_mov_b32 v59, 0 :: v_dual_mov_b32 v56, 0
	v_dual_mov_b32 v60, 0 :: v_dual_mov_b32 v57, 0
	v_cmp_gt_u32_e64 s2, s10, v2
	v_mov_b32_e32 v61, 0
	s_and_saveexec_b32 s3, s2
	s_cbranch_execz .LBB24_6
; %bb.5:
	global_load_b128 v[2:5], v130, s[8:9] scale_offset
	s_wait_loadcnt 0x0
	v_cvt_f32_f16_e32 v57, v2
	v_lshrrev_b32_e32 v2, 16, v2
	v_cvt_f32_f16_e32 v56, v3
	v_lshrrev_b32_e32 v3, 16, v3
	v_cvt_f32_f16_e32 v54, v4
	v_dual_lshrrev_b32 v4, 16, v4 :: v_dual_lshrrev_b32 v6, 16, v5
	v_cvt_f32_f16_e32 v55, v5
	v_cvt_f32_f16_e32 v61, v2
	v_cvt_f32_f16_e32 v60, v3
	s_delay_alu instid0(VALU_DEP_4)
	v_cvt_f32_f16_e32 v59, v4
	v_cvt_f32_f16_e32 v58, v6
.LBB24_6:
	s_or_b32 exec_lo, exec_lo, s3
	v_dual_mov_b32 v65, 0 :: v_dual_add_nc_u32 v128, s11, v130
	v_dual_mov_b32 v62, 0 :: v_dual_mov_b32 v66, 0
	s_delay_alu instid0(VALU_DEP_2) | instskip(SKIP_2) | instid1(VALU_DEP_3)
	v_dual_mov_b32 v63, 0 :: v_dual_lshlrev_b32 v2, 3, v128
	v_dual_mov_b32 v67, 0 :: v_dual_mov_b32 v64, 0
	v_mov_b32_e32 v68, 0
	v_cmp_gt_u32_e32 vcc_lo, s10, v2
	s_and_saveexec_b32 s3, vcc_lo
	s_cbranch_execz .LBB24_8
; %bb.7:
	global_load_b128 v[2:5], v128, s[8:9] scale_offset
	s_wait_loadcnt 0x0
	v_cvt_f32_f16_e32 v64, v2
	v_lshrrev_b32_e32 v2, 16, v2
	v_cvt_f32_f16_e32 v63, v3
	v_lshrrev_b32_e32 v3, 16, v3
	v_cvt_f32_f16_e32 v62, v4
	v_dual_lshrrev_b32 v4, 16, v4 :: v_dual_lshrrev_b32 v6, 16, v5
	v_cvt_f32_f16_e32 v53, v5
	v_cvt_f32_f16_e32 v68, v2
	v_cvt_f32_f16_e32 v67, v3
	s_delay_alu instid0(VALU_DEP_4)
	v_cvt_f32_f16_e32 v66, v4
	v_cvt_f32_f16_e32 v65, v6
.LBB24_8:
	s_or_b32 exec_lo, exec_lo, s3
	v_dual_mov_b32 v16, 0 :: v_dual_add_nc_u32 v129, s11, v128
	v_dual_mov_b32 v8, 0 :: v_dual_mov_b32 v22, 0
	s_delay_alu instid0(VALU_DEP_2) | instskip(SKIP_2) | instid1(VALU_DEP_3)
	v_dual_mov_b32 v23, 0 :: v_dual_lshlrev_b32 v3, 3, v129
	v_dual_mov_b32 v9, 0 :: v_dual_mov_b32 v4, 0
	v_dual_mov_b32 v5, 0 :: v_dual_mov_b32 v2, 0
	v_cmp_gt_u32_e64 s3, s10, v3
	v_mov_b32_e32 v3, 0
	s_and_saveexec_b32 s4, s3
	s_cbranch_execz .LBB24_10
; %bb.9:
	global_load_b128 v[4:7], v129, s[8:9] scale_offset
	s_wait_loadcnt 0x0
	v_cvt_f32_f16_e32 v2, v4
	v_lshrrev_b32_e32 v3, 16, v4
	v_cvt_f32_f16_e32 v4, v5
	v_lshrrev_b32_e32 v5, 16, v5
	v_cvt_f32_f16_e32 v8, v6
	v_dual_lshrrev_b32 v6, 16, v6 :: v_dual_lshrrev_b32 v10, 16, v7
	v_cvt_f32_f16_e32 v22, v7
	v_cvt_f32_f16_e32 v3, v3
	;; [unrolled: 1-line block ×3, first 2 shown]
	s_delay_alu instid0(VALU_DEP_4)
	v_cvt_f32_f16_e32 v9, v6
	v_cvt_f32_f16_e32 v23, v10
.LBB24_10:
	s_or_b32 exec_lo, exec_lo, s4
	v_dual_add_nc_u32 v131, s11, v129 :: v_dual_mov_b32 v17, 0
	v_dual_mov_b32 v14, 0 :: v_dual_mov_b32 v15, 0
	s_delay_alu instid0(VALU_DEP_2) | instskip(SKIP_1) | instid1(VALU_DEP_2)
	v_dual_mov_b32 v12, 0 :: v_dual_lshlrev_b32 v7, 3, v131
	v_dual_mov_b32 v13, 0 :: v_dual_mov_b32 v6, 0
	v_cmp_gt_u32_e64 s4, s10, v7
	v_mov_b32_e32 v7, 0
	s_and_saveexec_b32 s6, s4
	s_cbranch_execz .LBB24_12
; %bb.11:
	global_load_b128 v[14:17], v131, s[8:9] scale_offset
	s_wait_loadcnt 0x0
	v_dual_lshrrev_b32 v7, 16, v14 :: v_dual_lshrrev_b32 v10, 16, v15
	v_dual_lshrrev_b32 v11, 16, v16 :: v_dual_lshrrev_b32 v18, 16, v17
	v_cvt_f32_f16_e32 v6, v14
	v_cvt_f32_f16_e32 v12, v15
	;; [unrolled: 1-line block ×8, first 2 shown]
.LBB24_12:
	s_or_b32 exec_lo, exec_lo, s6
	v_dual_add_nc_u32 v132, s11, v131 :: v_dual_mov_b32 v34, 0
	v_dual_mov_b32 v20, 0 :: v_dual_mov_b32 v36, 0
	s_delay_alu instid0(VALU_DEP_2) | instskip(SKIP_2) | instid1(VALU_DEP_3)
	v_dual_mov_b32 v37, 0 :: v_dual_lshlrev_b32 v11, 3, v132
	v_dual_mov_b32 v21, 0 :: v_dual_mov_b32 v18, 0
	v_dual_mov_b32 v19, 0 :: v_dual_mov_b32 v10, 0
	v_cmp_gt_u32_e64 s6, s10, v11
	v_mov_b32_e32 v11, 0
	s_and_saveexec_b32 s12, s6
	s_cbranch_execz .LBB24_14
; %bb.13:
	global_load_b128 v[24:27], v132, s[8:9] scale_offset
	s_wait_loadcnt 0x0
	v_cvt_f32_f16_e32 v10, v24
	v_dual_lshrrev_b32 v11, 16, v24 :: v_dual_lshrrev_b32 v19, 16, v25
	v_dual_lshrrev_b32 v21, 16, v26 :: v_dual_lshrrev_b32 v24, 16, v27
	v_cvt_f32_f16_e32 v18, v25
	v_cvt_f32_f16_e32 v20, v26
	;; [unrolled: 1-line block ×7, first 2 shown]
.LBB24_14:
	s_or_b32 exec_lo, exec_lo, s12
	s_load_b32 s12, s[0:1], 0x20
	v_dual_mov_b32 v35, 0 :: v_dual_add_nc_u32 v134, s11, v132
	v_dual_mov_b32 v31, 0 :: v_dual_mov_b32 v28, 0
	s_delay_alu instid0(VALU_DEP_2) | instskip(SKIP_2) | instid1(VALU_DEP_2)
	v_dual_mov_b32 v25, 0 :: v_dual_lshlrev_b32 v24, 3, v134
	v_dual_mov_b32 v29, 0 :: v_dual_mov_b32 v30, 0
	s_wait_xcnt 0x0
	v_cmp_gt_u32_e64 s0, s10, v24
	v_mov_b32_e32 v24, 0
	s_and_saveexec_b32 s1, s0
	s_cbranch_execz .LBB24_16
; %bb.15:
	global_load_b128 v[24:27], v134, s[8:9] scale_offset
	s_wait_loadcnt 0x0
	v_cvt_f32_f16_e32 v28, v24
	v_lshrrev_b32_e32 v29, 16, v24
	v_cvt_f32_f16_e32 v30, v25
	v_lshrrev_b32_e32 v25, 16, v25
	v_cvt_f32_f16_e32 v24, v26
	v_dual_lshrrev_b32 v26, 16, v26 :: v_dual_lshrrev_b32 v32, 16, v27
	v_cvt_f32_f16_e32 v34, v27
	v_cvt_f32_f16_e32 v29, v29
	;; [unrolled: 1-line block ×3, first 2 shown]
	s_delay_alu instid0(VALU_DEP_4)
	v_cvt_f32_f16_e32 v25, v26
	v_cvt_f32_f16_e32 v35, v32
.LBB24_16:
	s_or_b32 exec_lo, exec_lo, s1
	v_pk_add_f32 v[32:33], v[6:7], v[6:7] op_sel_hi:[0,1] neg_lo:[0,1] neg_hi:[0,1]
	v_pk_add_f32 v[26:27], v[2:3], v[2:3] op_sel_hi:[0,1] neg_lo:[0,1] neg_hi:[0,1]
	v_add_f32_e32 v26, v2, v3
	v_add_f32_e32 v2, v6, v7
	v_pk_add_f32 v[6:7], v[10:11], v[10:11] op_sel_hi:[0,1] neg_lo:[0,1] neg_hi:[0,1]
	v_mov_b32_e32 v3, v33
	v_pk_add_f32 v[32:33], v[28:29], v[28:29] op_sel_hi:[0,1] neg_lo:[0,1] neg_hi:[0,1]
	v_add_f32_e32 v6, v10, v11
	v_pk_add_f32 v[70:71], v[4:5], v[4:5] op_sel_hi:[0,1] neg_lo:[0,1] neg_hi:[0,1]
	v_add_f32_e32 v10, v28, v29
	s_delay_alu instid0(VALU_DEP_4) | instskip(SKIP_1) | instid1(VALU_DEP_4)
	v_dual_add_f32 v28, v4, v5 :: v_dual_mov_b32 v11, v33
	v_pk_add_f32 v[32:33], v[12:13], v[12:13] op_sel_hi:[0,1] neg_lo:[0,1] neg_hi:[0,1]
	v_mov_b32_e32 v29, v71
	v_pk_add_f32 v[70:71], v[18:19], v[18:19] op_sel_hi:[0,1] neg_lo:[0,1] neg_hi:[0,1]
	v_add_f32_e32 v4, v12, v13
	v_pk_add_f32 v[12:13], v[30:31], v[30:31] op_sel_hi:[0,1] neg_lo:[0,1] neg_hi:[0,1]
	v_mov_b32_e32 v5, v33
	v_pk_add_f32 v[32:33], v[8:9], v[8:9] op_sel_hi:[0,1] neg_lo:[0,1] neg_hi:[0,1]
	v_dual_add_f32 v18, v18, v19 :: v_dual_mov_b32 v19, v71
	v_dual_add_f32 v12, v30, v31 :: v_dual_add_f32 v30, v8, v9
	v_pk_add_f32 v[70:71], v[14:15], v[14:15] op_sel_hi:[0,1] neg_lo:[0,1] neg_hi:[0,1]
	s_delay_alu instid0(VALU_DEP_4) | instskip(SKIP_2) | instid1(VALU_DEP_4)
	v_dual_mov_b32 v31, v33 :: v_dual_add_f32 v8, v14, v15
	v_pk_add_f32 v[32:33], v[20:21], v[20:21] op_sel_hi:[0,1] neg_lo:[0,1] neg_hi:[0,1]
	v_pk_add_f32 v[14:15], v[24:25], v[24:25] op_sel_hi:[0,1] neg_lo:[0,1] neg_hi:[0,1]
	v_dual_mov_b32 v9, v71 :: v_dual_add_f32 v20, v20, v21
	s_delay_alu instid0(VALU_DEP_3)
	v_dual_add_f32 v14, v24, v25 :: v_dual_mov_b32 v21, v33
	v_pk_add_f32 v[32:33], v[22:23], v[22:23] op_sel_hi:[0,1] neg_lo:[0,1] neg_hi:[0,1]
	v_pk_add_f32 v[24:25], v[16:17], v[16:17] op_sel_hi:[0,1] neg_lo:[0,1] neg_hi:[0,1]
	v_dual_add_f32 v32, v22, v23 :: v_dual_add_f32 v24, v16, v17
	v_add_f32_e32 v22, v36, v37
	v_pk_add_f32 v[16:17], v[36:37], v[36:37] op_sel_hi:[0,1] neg_lo:[0,1] neg_hi:[0,1]
	v_pk_add_f32 v[36:37], v[34:35], v[34:35] op_sel_hi:[0,1] neg_lo:[0,1] neg_hi:[0,1]
	v_dual_add_f32 v36, v38, v42 :: v_dual_add_f32 v69, v43, v39
	v_dual_add_f32 v70, v45, v41 :: v_dual_sub_f32 v38, v38, v42
	v_dual_sub_f32 v39, v39, v43 :: v_dual_add_f32 v71, v44, v40
	v_dual_mov_b32 v23, v17 :: v_dual_add_f32 v16, v34, v35
	v_dual_add_f32 v34, v52, v48 :: v_dual_add_f32 v35, v51, v47
	v_dual_add_f32 v72, v50, v46 :: v_dual_add_f32 v73, v49, v1
	s_delay_alu instid0(VALU_DEP_4)
	v_dual_add_f32 v74, v71, v70 :: v_dual_sub_f32 v41, v41, v45
	v_dual_sub_f32 v40, v40, v44 :: v_dual_add_f32 v44, v39, v38
	v_dual_sub_f32 v45, v48, v52 :: v_dual_sub_f32 v47, v47, v51
	v_dual_sub_f32 v46, v46, v50 :: v_dual_sub_f32 v48, v1, v49
	v_dual_sub_f32 v50, v56, v60 :: v_dual_mov_b32 v17, v37
	v_dual_add_f32 v75, v35, v34 :: v_dual_add_f32 v37, v69, v36
	v_dual_add_f32 v79, v59, v54 :: v_dual_add_f32 v76, v73, v72
	v_dual_add_f32 v80, v58, v55 :: v_dual_add_f32 v77, v61, v57
	v_add_f32_e32 v78, v60, v56
	v_dual_add_f32 v84, v68, v64 :: v_dual_add_f32 v85, v67, v63
	v_dual_add_f32 v1, v40, v41 :: v_dual_sub_f32 v54, v54, v59
	v_dual_sub_f32 v49, v57, v61 :: v_dual_add_f32 v52, v48, v46
	s_delay_alu instid0(VALU_DEP_2) | instskip(SKIP_3) | instid1(VALU_DEP_4)
	v_dual_add_f32 v51, v47, v45 :: v_dual_add_f32 v56, v1, v44
	v_dual_sub_f32 v55, v55, v58 :: v_dual_sub_f32 v44, v1, v44
	v_dual_sub_f32 v60, v63, v67 :: v_dual_sub_f32 v61, v62, v66
	;; [unrolled: 1-line block ×3, first 2 shown]
	v_dual_add_f32 v87, v65, v53 :: v_dual_add_f32 v57, v52, v51
	s_delay_alu instid0(VALU_DEP_4)
	v_dual_add_f32 v1, v50, v49 :: v_dual_add_f32 v58, v55, v54
	v_dual_sub_f32 v59, v64, v68 :: v_dual_sub_f32 v53, v53, v65
	v_dual_sub_f32 v51, v51, v52 :: v_dual_sub_f32 v34, v34, v35
	v_dual_sub_f32 v35, v72, v73 :: v_dual_add_f32 v65, v63, v36
	v_sub_f32_e32 v36, v63, v36
	v_mbcnt_lo_u32_b32 v63, -1, 0
	v_dual_add_f32 v83, v80, v79 :: v_dual_add_f32 v86, v66, v62
	v_dual_add_f32 v52, v58, v1 :: v_dual_sub_f32 v58, v1, v58
	v_dual_add_f32 v1, v60, v59 :: v_dual_add_f32 v62, v53, v61
	v_dual_add_f32 v66, v35, v34 :: v_dual_sub_f32 v34, v34, v35
	v_dual_sub_f32 v68, v84, v85 :: v_dual_bitop2_b32 v35, 1, v63 bitop3:0x14
	s_delay_alu instid0(VALU_DEP_3) | instskip(SKIP_1) | instid1(VALU_DEP_3)
	v_dual_add_f32 v64, v62, v1 :: v_dual_sub_f32 v62, v1, v62
	v_dual_sub_f32 v1, v77, v78 :: v_dual_sub_f32 v67, v79, v80
	v_cmp_gt_i32_e64 s1, 32, v35
	v_dual_add_f32 v81, v74, v37 :: v_dual_sub_f32 v37, v74, v37
	v_dual_add_f32 v74, v76, v75 :: v_dual_add_f32 v82, v78, v77
	v_dual_sub_f32 v75, v75, v76 :: v_dual_sub_f32 v69, v86, v87
	v_add_f32_e32 v70, v67, v1
	v_cndmask_b32_e64 v35, v63, v35, s1
	v_dual_sub_f32 v38, v39, v38 :: v_dual_sub_f32 v39, v41, v40
	s_delay_alu instid0(VALU_DEP_4) | instskip(NEXT) | instid1(VALU_DEP_3)
	v_dual_sub_f32 v40, v1, v67 :: v_dual_sub_f32 v67, v68, v69
	v_dual_add_f32 v41, v69, v68 :: v_dual_lshlrev_b32 v1, 2, v35
	s_delay_alu instid0(VALU_DEP_3)
	v_dual_add_f32 v35, v39, v38 :: v_dual_sub_f32 v45, v45, v47
	v_dual_sub_f32 v46, v46, v48 :: v_dual_sub_f32 v47, v49, v50
	v_sub_f32_e32 v50, v54, v55
	ds_bpermute_b32 v48, v1, v81
	ds_bpermute_b32 v49, v1, v56
	v_dual_sub_f32 v38, v39, v38 :: v_dual_bitop2_b32 v54, 1, v0 bitop3:0x40
	v_dual_add_f32 v39, v46, v45 :: v_dual_sub_f32 v45, v45, v46
	v_dual_add_f32 v46, v50, v47 :: v_dual_sub_f32 v55, v59, v60
	s_delay_alu instid0(VALU_DEP_3)
	v_cmp_eq_u32_e64 s1, 0, v54
	ds_bpermute_b32 v54, v1, v65
	ds_bpermute_b32 v60, v1, v37
	v_sub_f32_e32 v53, v61, v53
	ds_bpermute_b32 v59, v1, v35
	ds_bpermute_b32 v61, v1, v44
	v_dual_cndmask_b32 v68, -v81, v81, s1 :: v_dual_sub_f32 v47, v47, v50
	v_dual_cndmask_b32 v56, -v56, v56, s1 :: v_dual_add_f32 v50, v53, v55
	v_sub_f32_e32 v53, v55, v53
	s_wait_dscnt 0x5
	s_delay_alu instid0(VALU_DEP_3)
	v_dual_cndmask_b32 v55, -v65, v65, s1 :: v_dual_add_f32 v48, v68, v48
	s_wait_dscnt 0x4
	v_dual_add_f32 v49, v56, v49 :: v_dual_cndmask_b32 v35, -v35, v35, s1
	ds_bpermute_b32 v56, v1, v36
	ds_bpermute_b32 v65, v1, v38
	;; [unrolled: 1-line block ×3, first 2 shown]
	v_dual_cndmask_b32 v37, -v37, v37, s1 :: v_dual_cndmask_b32 v44, -v44, v44, s1
	ds_bpermute_b32 v68, v1, v74
	ds_bpermute_b32 v71, v1, v66
	s_wait_dscnt 0x7
	v_dual_add_f32 v54, v55, v54 :: v_dual_add_f32 v37, v37, v60
	ds_bpermute_b32 v60, v1, v75
	s_wait_dscnt 0x6
	v_dual_add_f32 v35, v35, v59 :: v_dual_add_f32 v44, v44, v61
	ds_bpermute_b32 v61, v1, v51
	v_dual_cndmask_b32 v36, -v36, v36, s1 :: v_dual_cndmask_b32 v38, -v38, v38, s1
	v_dual_cndmask_b32 v55, -v74, v74, s1 :: v_dual_cndmask_b32 v57, -v57, v57, s1
	ds_bpermute_b32 v59, v1, v39
	ds_bpermute_b32 v72, v1, v34
	v_dual_add_f32 v76, v83, v82 :: v_dual_sub_f32 v82, v82, v83
	s_wait_dscnt 0x8
	v_dual_cndmask_b32 v66, -v66, v66, s1 :: v_dual_add_f32 v36, v36, v56
	s_wait_dscnt 0x7
	v_add_f32_e32 v38, v38, v65
	s_wait_dscnt 0x6
	v_dual_add_f32 v56, v57, v69 :: v_dual_cndmask_b32 v39, -v39, v39, s1
	v_dual_cndmask_b32 v57, -v75, v75, s1 :: v_dual_cndmask_b32 v34, -v34, v34, s1
	ds_bpermute_b32 v65, v1, v45
	ds_bpermute_b32 v73, v1, v70
	s_wait_dscnt 0x7
	v_add_f32_e32 v55, v55, v68
	s_wait_dscnt 0x5
	v_dual_cndmask_b32 v51, -v51, v51, s1 :: v_dual_add_f32 v57, v57, v60
	ds_bpermute_b32 v68, v1, v76
	v_add_f32_e32 v66, v66, v71
	ds_bpermute_b32 v71, v1, v40
	ds_bpermute_b32 v69, v1, v52
	;; [unrolled: 1-line block ×3, first 2 shown]
	s_wait_dscnt 0x8
	v_add_f32_e32 v51, v51, v61
	ds_bpermute_b32 v60, v1, v82
	ds_bpermute_b32 v61, v1, v58
	s_wait_dscnt 0x8
	v_dual_add_f32 v39, v39, v59 :: v_dual_add_f32 v34, v34, v72
	v_dual_cndmask_b32 v45, -v45, v45, s1 :: v_dual_cndmask_b32 v59, -v76, v76, s1
	ds_bpermute_b32 v72, v1, v47
	v_dual_cndmask_b32 v52, -v52, v52, s1 :: v_dual_cndmask_b32 v70, -v70, v70, s1
	v_dual_add_f32 v83, v85, v84 :: v_dual_add_f32 v88, v87, v86
	s_wait_dscnt 0x8
	v_dual_cndmask_b32 v46, -v46, v46, s1 :: v_dual_add_f32 v45, v45, v65
	s_wait_dscnt 0x7
	v_dual_add_f32 v65, v70, v73 :: v_dual_cndmask_b32 v40, -v40, v40, s1
	v_dual_add_f32 v42, v88, v83 :: v_dual_sub_f32 v43, v83, v88
	s_wait_dscnt 0x4
	v_dual_add_f32 v59, v59, v68 :: v_dual_add_f32 v52, v52, v69
	s_delay_alu instid0(VALU_DEP_3)
	v_dual_cndmask_b32 v68, -v82, v82, s1 :: v_dual_add_f32 v40, v40, v71
	v_cndmask_b32_e64 v58, -v58, v58, s1
	s_wait_dscnt 0x3
	v_dual_add_f32 v46, v46, v74 :: v_dual_cndmask_b32 v47, -v47, v47, s1
	ds_bpermute_b32 v69, v1, v42
	ds_bpermute_b32 v70, v1, v64
	;; [unrolled: 1-line block ×4, first 2 shown]
	s_wait_dscnt 0x5
	v_dual_add_f32 v60, v68, v60 :: v_dual_add_f32 v58, v58, v61
	s_wait_dscnt 0x4
	v_dual_add_f32 v47, v47, v72 :: v_dual_cndmask_b32 v42, -v42, v42, s1
	v_xor_b32_e32 v61, 2, v63
	ds_bpermute_b32 v68, v1, v43
	ds_bpermute_b32 v71, v1, v62
	;; [unrolled: 1-line block ×3, first 2 shown]
	v_dual_cndmask_b32 v41, -v41, v41, s1 :: v_dual_cndmask_b32 v76, -v50, v50, s1
	v_cmp_gt_i32_e64 s8, 32, v61
	v_cndmask_b32_e64 v64, -v64, v64, s1
	ds_bpermute_b32 v75, v1, v53
	v_dual_cndmask_b32 v43, -v43, v43, s1 :: v_dual_cndmask_b32 v62, -v62, v62, s1
	v_cndmask_b32_e64 v67, -v67, v67, s1
	v_cndmask_b32_e64 v61, v63, v61, s8
	s_wait_dscnt 0x7
	v_add_f32_e32 v42, v42, v69
	s_wait_dscnt 0x5
	v_add_f32_e32 v41, v41, v73
	v_cndmask_b32_e64 v53, -v53, v53, s1
	s_wait_dscnt 0x0
	v_dual_add_f32 v61, v64, v70 :: v_dual_lshlrev_b32 v50, 2, v61
	v_dual_add_f32 v64, v76, v74 :: v_dual_bitop2_b32 v74, 2, v0 bitop3:0x40
	v_dual_add_f32 v43, v43, v68 :: v_dual_add_f32 v62, v62, v71
	ds_bpermute_b32 v69, v50, v48
	ds_bpermute_b32 v70, v50, v49
	v_cmp_eq_u32_e64 s8, 0, v74
	v_add_f32_e32 v67, v67, v72
	ds_bpermute_b32 v68, v50, v35
	ds_bpermute_b32 v71, v50, v37
	;; [unrolled: 1-line block ×4, first 2 shown]
	v_dual_cndmask_b32 v48, -v48, v48, s8 :: v_dual_cndmask_b32 v54, -v54, v54, s8
	v_cndmask_b32_e64 v49, -v49, v49, s8
	ds_bpermute_b32 v76, v50, v38
	v_add_f32_e32 v53, v53, v75
	v_dual_cndmask_b32 v35, -v35, v35, s8 :: v_dual_cndmask_b32 v37, -v37, v37, s8
	v_dual_cndmask_b32 v44, -v44, v44, s8 :: v_dual_cndmask_b32 v38, -v38, v38, s8
	ds_bpermute_b32 v74, v50, v36
	v_cndmask_b32_e64 v36, -v36, v36, s8
	ds_bpermute_b32 v75, v50, v45
	s_wait_dscnt 0x8
	v_add_f32_e32 v48, v48, v69
	ds_bpermute_b32 v69, v50, v55
	s_wait_dscnt 0x8
	v_add_f32_e32 v49, v49, v70
	ds_bpermute_b32 v70, v50, v56
	v_cndmask_b32_e64 v55, -v55, v55, s8
	s_wait_dscnt 0x7
	v_dual_add_f32 v37, v37, v71 :: v_dual_add_f32 v35, v35, v68
	s_wait_dscnt 0x6
	v_add_f32_e32 v44, v44, v72
	ds_bpermute_b32 v68, v50, v39
	ds_bpermute_b32 v71, v50, v57
	;; [unrolled: 1-line block ×3, first 2 shown]
	s_wait_dscnt 0x8
	v_add_f32_e32 v54, v54, v73
	ds_bpermute_b32 v73, v50, v66
	s_wait_dscnt 0x8
	v_add_f32_e32 v38, v38, v76
	v_dual_cndmask_b32 v56, -v56, v56, s8 :: v_dual_cndmask_b32 v66, -v66, v66, s8
	v_dual_cndmask_b32 v39, -v39, v39, s8 :: v_dual_cndmask_b32 v57, -v57, v57, s8
	s_wait_dscnt 0x7
	v_dual_cndmask_b32 v51, -v51, v51, s8 :: v_dual_add_f32 v36, v36, v74
	ds_bpermute_b32 v74, v50, v34
	s_wait_dscnt 0x6
	v_add_f32_e32 v55, v55, v69
	ds_bpermute_b32 v69, v50, v59
	s_wait_dscnt 0x6
	v_add_f32_e32 v56, v56, v70
	ds_bpermute_b32 v70, v50, v52
	v_dual_cndmask_b32 v34, -v34, v34, s8 :: v_dual_cndmask_b32 v45, -v45, v45, s8
	ds_bpermute_b32 v77, v50, v47
	s_wait_dscnt 0x6
	v_dual_add_f32 v39, v39, v68 :: v_dual_add_f32 v57, v57, v71
	s_wait_dscnt 0x5
	v_add_f32_e32 v68, v51, v72
	v_dual_cndmask_b32 v51, -v59, v59, s8 :: v_dual_cndmask_b32 v52, -v52, v52, s8
	ds_bpermute_b32 v59, v50, v46
	ds_bpermute_b32 v71, v50, v60
	;; [unrolled: 1-line block ×3, first 2 shown]
	s_wait_dscnt 0x7
	v_add_f32_e32 v66, v66, v73
	ds_bpermute_b32 v73, v50, v65
	ds_bpermute_b32 v76, v50, v40
	v_dual_add_f32 v45, v45, v75 :: v_dual_cndmask_b32 v46, -v46, v46, s8
	v_dual_cndmask_b32 v58, -v58, v58, s8 :: v_dual_cndmask_b32 v40, -v40, v40, s8
	s_wait_dscnt 0x7
	v_dual_add_f32 v69, v51, v69 :: v_dual_cndmask_b32 v51, -v60, v60, s8
	v_dual_cndmask_b32 v47, -v47, v47, s8 :: v_dual_cndmask_b32 v65, -v65, v65, s8
	v_add_f32_e32 v34, v34, v74
	s_wait_dscnt 0x6
	v_add_f32_e32 v52, v52, v70
	ds_bpermute_b32 v60, v50, v42
	ds_bpermute_b32 v70, v50, v61
	v_cndmask_b32_e64 v42, -v42, v42, s8
	ds_bpermute_b32 v75, v50, v67
	s_wait_dscnt 0x7
	v_add_f32_e32 v46, v46, v59
	s_wait_dscnt 0x5
	v_dual_add_f32 v59, v51, v71 :: v_dual_add_f32 v58, v58, v72
	v_dual_add_f32 v47, v47, v77 :: v_dual_bitop2_b32 v51, 4, v63 bitop3:0x14
	s_wait_dscnt 0x4
	v_add_f32_e32 v65, v65, v73
	ds_bpermute_b32 v73, v50, v41
	ds_bpermute_b32 v71, v50, v64
	;; [unrolled: 1-line block ×3, first 2 shown]
	v_cmp_gt_i32_e64 s9, 32, v51
	v_cndmask_b32_e64 v61, -v61, v61, s8
	s_wait_dscnt 0x6
	v_dual_cndmask_b32 v41, -v41, v41, s8 :: v_dual_add_f32 v40, v40, v76
	v_dual_cndmask_b32 v67, -v67, v67, s8 :: v_dual_bitop2_b32 v76, 4, v0 bitop3:0x40
	s_wait_dscnt 0x5
	v_dual_cndmask_b32 v51, v63, v51, s9 :: v_dual_add_f32 v42, v42, v60
	s_wait_dscnt 0x4
	v_add_f32_e32 v60, v61, v70
	ds_bpermute_b32 v74, v50, v62
	ds_bpermute_b32 v61, v50, v53
	v_dual_lshlrev_b32 v51, 2, v51 :: v_dual_cndmask_b32 v64, -v64, v64, s8
	v_dual_cndmask_b32 v43, -v43, v43, s8 :: v_dual_cndmask_b32 v62, -v62, v62, s8
	v_cmp_eq_u32_e64 s9, 0, v76
	ds_bpermute_b32 v70, v51, v48
	s_wait_dscnt 0x5
	v_add_f32_e32 v41, v41, v73
	ds_bpermute_b32 v73, v51, v49
	s_wait_dscnt 0x4
	v_dual_add_f32 v64, v64, v71 :: v_dual_add_f32 v43, v43, v72
	ds_bpermute_b32 v71, v51, v54
	ds_bpermute_b32 v72, v51, v35
	v_dual_cndmask_b32 v48, -v48, v48, s9 :: v_dual_add_f32 v67, v67, v75
	v_cndmask_b32_e64 v49, -v49, v49, s9
	v_dual_cndmask_b32 v53, -v53, v53, s8 :: v_dual_cndmask_b32 v54, -v54, v54, s9
	s_wait_dscnt 0x5
	v_dual_cndmask_b32 v35, -v35, v35, s9 :: v_dual_add_f32 v62, v62, v74
	ds_bpermute_b32 v74, v51, v56
	s_wait_dscnt 0x5
	v_add_f32_e32 v53, v53, v61
	ds_bpermute_b32 v61, v51, v36
	v_cndmask_b32_e64 v36, -v36, v36, s9
	ds_bpermute_b32 v75, v51, v57
	ds_bpermute_b32 v76, v51, v37
	s_wait_dscnt 0x7
	v_add_f32_e32 v48, v48, v70
	ds_bpermute_b32 v70, v51, v38
	s_wait_dscnt 0x7
	v_add_f32_e32 v49, v49, v73
	ds_bpermute_b32 v73, v51, v55
	v_cndmask_b32_e64 v38, -v38, v38, s9
	s_wait_dscnt 0x6
	v_dual_add_f32 v54, v54, v71 :: v_dual_add_f32 v35, v35, v72
	ds_bpermute_b32 v72, v51, v39
	ds_bpermute_b32 v71, v51, v66
	v_cndmask_b32_e64 v55, -v55, v55, s9
	v_dual_cndmask_b32 v39, -v39, v39, s9 :: v_dual_cndmask_b32 v66, -v66, v66, s9
	v_cndmask_b32_e64 v57, -v57, v57, s9
	ds_bpermute_b32 v77, v51, v44
	v_dual_cndmask_b32 v37, -v37, v37, s9 :: v_dual_cndmask_b32 v44, -v44, v44, s9
	s_wait_dscnt 0x7
	v_add_f32_e32 v36, v36, v61
	ds_bpermute_b32 v61, v51, v68
	v_and_b32_e32 v78, 8, v0
	s_wait_dscnt 0x6
	v_add_f32_e32 v37, v37, v76
	ds_bpermute_b32 v76, v51, v65
	s_wait_dscnt 0x6
	v_dual_add_f32 v70, v38, v70 :: v_dual_cndmask_b32 v38, -v56, v56, s9
	ds_bpermute_b32 v56, v51, v34
	s_wait_dscnt 0x6
	v_add_f32_e32 v55, v55, v73
	ds_bpermute_b32 v73, v51, v45
	s_wait_dscnt 0x6
	v_dual_cndmask_b32 v34, -v34, v34, s9 :: v_dual_add_f32 v39, v39, v72
	v_add_f32_e32 v74, v38, v74
	ds_bpermute_b32 v38, v51, v69
	s_wait_dscnt 0x6
	v_add_f32_e32 v66, v66, v71
	ds_bpermute_b32 v71, v51, v52
	v_dual_cndmask_b32 v45, -v45, v45, s9 :: v_dual_cndmask_b32 v68, -v68, v68, s9
	v_add_f32_e32 v57, v57, v75
	ds_bpermute_b32 v72, v51, v40
	v_dual_cndmask_b32 v52, -v52, v52, s9 :: v_dual_cndmask_b32 v65, -v65, v65, s9
	s_wait_dscnt 0x6
	v_add_f32_e32 v61, v68, v61
	v_cndmask_b32_e64 v68, -v69, v69, s9
	ds_bpermute_b32 v69, v51, v59
	v_dual_cndmask_b32 v59, -v59, v59, s9 :: v_dual_cndmask_b32 v40, -v40, v40, s9
	s_wait_dscnt 0x5
	v_add_f32_e32 v34, v34, v56
	ds_bpermute_b32 v56, v51, v58
	s_wait_dscnt 0x5
	v_add_f32_e32 v45, v45, v73
	ds_bpermute_b32 v73, v51, v47
	v_dual_cndmask_b32 v58, -v58, v58, s9 :: v_dual_add_f32 v44, v44, v77
	s_wait_dscnt 0x5
	v_add_f32_e32 v68, v68, v38
	ds_bpermute_b32 v38, v51, v42
	s_wait_dscnt 0x5
	v_add_f32_e32 v52, v52, v71
	ds_bpermute_b32 v71, v51, v60
	ds_bpermute_b32 v77, v51, v46
	v_cndmask_b32_e64 v47, -v47, v47, s9
	ds_bpermute_b32 v75, v51, v41
	s_wait_dscnt 0x7
	v_dual_cndmask_b32 v42, -v42, v42, s9 :: v_dual_add_f32 v40, v40, v72
	ds_bpermute_b32 v72, v51, v43
	s_wait_dscnt 0x7
	v_dual_cndmask_b32 v46, -v46, v46, s9 :: v_dual_add_f32 v59, v59, v69
	ds_bpermute_b32 v69, v51, v64
	v_add_f32_e32 v65, v65, v76
	v_cndmask_b32_e64 v60, -v60, v60, s9
	s_wait_dscnt 0x7
	v_dual_add_f32 v56, v58, v56 :: v_dual_bitop2_b32 v58, 8, v63 bitop3:0x14
	s_wait_dscnt 0x6
	v_add_f32_e32 v47, v47, v73
	ds_bpermute_b32 v73, v51, v62
	ds_bpermute_b32 v76, v51, v67
	s_wait_dscnt 0x7
	v_dual_cndmask_b32 v41, -v41, v41, s9 :: v_dual_add_f32 v42, v42, v38
	v_cmp_gt_i32_e64 s10, 32, v58
	s_wait_dscnt 0x6
	v_add_f32_e32 v60, v60, v71
	v_dual_cndmask_b32 v64, -v64, v64, s9 :: v_dual_cndmask_b32 v43, -v43, v43, s9
	v_cndmask_b32_e64 v62, -v62, v62, s9
	s_wait_dscnt 0x5
	v_dual_cndmask_b32 v58, v63, v58, s10 :: v_dual_add_f32 v46, v46, v77
	s_wait_dscnt 0x4
	v_add_f32_e32 v41, v41, v75
	v_cndmask_b32_e64 v67, -v67, v67, s9
	s_wait_dscnt 0x3
	v_dual_add_f32 v72, v43, v72 :: v_dual_lshlrev_b32 v38, 2, v58
	ds_bpermute_b32 v58, v51, v53
	s_wait_dscnt 0x3
	v_add_f32_e32 v64, v64, v69
	v_cndmask_b32_e64 v43, -v53, v53, s9
	v_cmp_eq_u32_e64 s10, 0, v78
	ds_bpermute_b32 v71, v38, v48
	ds_bpermute_b32 v69, v38, v49
	;; [unrolled: 1-line block ×5, first 2 shown]
	s_wait_dscnt 0x7
	v_dual_add_f32 v62, v62, v73 :: v_dual_cndmask_b32 v48, -v48, v48, s10
	s_wait_dscnt 0x6
	v_dual_add_f32 v73, v67, v76 :: v_dual_cndmask_b32 v49, -v49, v49, s10
	ds_bpermute_b32 v67, v38, v70
	v_dual_cndmask_b32 v35, -v35, v35, s10 :: v_dual_cndmask_b32 v54, -v54, v54, s10
	v_cndmask_b32_e64 v37, -v37, v37, s10
	ds_bpermute_b32 v78, v38, v61
	s_barrier_signal -1
	s_barrier_wait -1
	s_wait_dscnt 0x7
	v_add_f32_e32 v76, v43, v58
	ds_bpermute_b32 v43, v38, v44
	ds_bpermute_b32 v58, v38, v36
	v_cndmask_b32_e64 v36, -v36, v36, s10
	s_wait_dscnt 0x8
	v_add_f32_e32 v48, v48, v71
	ds_bpermute_b32 v71, v38, v55
	s_wait_dscnt 0x8
	v_add_f32_e32 v49, v49, v69
	s_wait_dscnt 0x7
	v_dual_add_f32 v69, v35, v77 :: v_dual_cndmask_b32 v35, -v44, v44, s10
	ds_bpermute_b32 v44, v38, v74
	s_wait_dscnt 0x6
	v_dual_add_f32 v54, v54, v75 :: v_dual_add_f32 v37, v37, v53
	ds_bpermute_b32 v53, v38, v66
	ds_bpermute_b32 v75, v38, v39
	v_cndmask_b32_e64 v70, -v70, v70, s10
	ds_bpermute_b32 v77, v38, v57
	v_dual_cndmask_b32 v66, -v66, v66, s10 :: v_dual_cndmask_b32 v39, -v39, v39, s10
	s_wait_dscnt 0x0
	s_wait_kmcnt 0x0
	s_mov_b32 s13, s12
	v_add_f32_e32 v43, v35, v43
	v_dual_cndmask_b32 v35, -v55, v55, s10 :: v_dual_add_f32 v55, v36, v58
	v_cndmask_b32_e64 v36, -v74, v74, s10
	v_add_f32_e32 v58, v70, v67
	ds_bpermute_b32 v67, v38, v34
	v_add_f32_e32 v70, v35, v71
	ds_bpermute_b32 v35, v38, v45
	ds_bpermute_b32 v71, v38, v68
	;; [unrolled: 1-line block ×3, first 2 shown]
	v_dual_add_f32 v44, v36, v44 :: v_dual_cndmask_b32 v36, -v57, v57, s10
	v_dual_cndmask_b32 v57, -v61, v61, s10 :: v_dual_cndmask_b32 v34, -v34, v34, s10
	v_dual_add_f32 v53, v66, v53 :: v_dual_add_f32 v61, v39, v75
	s_delay_alu instid0(VALU_DEP_3)
	v_add_f32_e32 v66, v36, v77
	ds_bpermute_b32 v36, v38, v65
	v_dual_cndmask_b32 v39, -v45, v45, s10 :: v_dual_cndmask_b32 v68, -v68, v68, s10
	ds_bpermute_b32 v45, v38, v46
	ds_bpermute_b32 v75, v38, v59
	v_dual_cndmask_b32 v65, -v65, v65, s10 :: v_dual_cndmask_b32 v59, -v59, v59, s10
	s_wait_dscnt 0x6
	v_dual_add_f32 v57, v57, v78 :: v_dual_add_f32 v67, v34, v67
	s_wait_dscnt 0x5
	v_dual_cndmask_b32 v34, -v52, v52, s10 :: v_dual_add_f32 v52, v39, v35
	v_xor_b32_e32 v39, 16, v63
	ds_bpermute_b32 v35, v38, v56
	s_wait_dscnt 0x4
	v_dual_add_f32 v68, v68, v71 :: v_dual_add_f32 v71, v34, v74
	ds_bpermute_b32 v34, v38, v40
	v_cmp_gt_i32_e64 s11, 32, v39
	v_dual_cndmask_b32 v46, -v46, v46, s10 :: v_dual_cndmask_b32 v56, -v56, v56, s10
	ds_bpermute_b32 v78, v38, v60
	s_wait_dscnt 0x5
	v_dual_cndmask_b32 v39, v63, v39, s11 :: v_dual_add_f32 v65, v65, v36
	ds_bpermute_b32 v63, v38, v47
	s_wait_dscnt 0x4
	v_dual_add_f32 v74, v46, v45 :: v_dual_add_f32 v75, v59, v75
	v_dual_lshlrev_b32 v39, 2, v39 :: v_dual_cndmask_b32 v36, -v40, v40, s10
	ds_bpermute_b32 v40, v38, v42
	v_and_b32_e32 v46, 16, v0
	ds_bpermute_b32 v45, v39, v48
	ds_bpermute_b32 v59, v39, v49
	;; [unrolled: 1-line block ×3, first 2 shown]
	s_wait_dscnt 0x7
	v_add_f32_e32 v79, v56, v35
	v_cmp_eq_u32_e64 s11, 0, v46
	s_wait_dscnt 0x6
	v_dual_add_f32 v80, v36, v34 :: v_dual_cndmask_b32 v34, -v47, v47, s10
	v_cndmask_b32_e64 v35, -v42, v42, s10
	ds_bpermute_b32 v47, v39, v69
	v_dual_cndmask_b32 v36, -v48, v48, s11 :: v_dual_cndmask_b32 v46, -v54, v54, s11
	v_cndmask_b32_e64 v56, -v60, v60, s10
	ds_bpermute_b32 v48, v39, v37
	ds_bpermute_b32 v54, v39, v55
	v_cndmask_b32_e64 v42, -v49, v49, s11
	ds_bpermute_b32 v49, v39, v43
	s_wait_dscnt 0x7
	v_dual_add_f32 v81, v34, v63 :: v_dual_add_f32 v82, v35, v40
	ds_bpermute_b32 v60, v38, v41
	v_dual_cndmask_b32 v40, -v69, v69, s11 :: v_dual_cndmask_b32 v43, -v43, v43, s11
	s_wait_dscnt 0x6
	v_dual_add_f32 v34, v36, v45 :: v_dual_add_f32 v35, v42, v59
	s_wait_dscnt 0x5
	v_dual_add_f32 v36, v46, v77 :: v_dual_add_f32 v77, v56, v78
	v_dual_cndmask_b32 v42, -v37, v37, s11 :: v_dual_cndmask_b32 v46, -v55, v55, s11
	ds_bpermute_b32 v45, v39, v58
	ds_bpermute_b32 v55, v39, v70
	;; [unrolled: 1-line block ×5, first 2 shown]
	s_wait_dscnt 0x9
	v_dual_cndmask_b32 v63, -v41, v41, s10 :: v_dual_add_f32 v37, v40, v47
	s_wait_dscnt 0x6
	v_dual_add_f32 v40, v42, v48 :: v_dual_add_f32 v41, v43, v49
	v_add_f32_e32 v42, v46, v54
	v_dual_cndmask_b32 v46, -v70, v70, s11 :: v_dual_cndmask_b32 v48, -v53, v53, s11
	ds_bpermute_b32 v53, v39, v66
	v_dual_cndmask_b32 v43, -v58, v58, s11 :: v_dual_cndmask_b32 v47, -v44, v44, s11
	ds_bpermute_b32 v49, v39, v61
	v_cndmask_b32_e64 v54, -v64, v64, s10
	s_wait_dscnt 0x7
	v_add_f32_e32 v78, v63, v60
	ds_bpermute_b32 v58, v39, v57
	ds_bpermute_b32 v60, v39, v67
	s_wait_dscnt 0x7
	v_dual_add_f32 v43, v43, v45 :: v_dual_add_f32 v44, v46, v55
	s_wait_dscnt 0x6
	v_add_f32_e32 v46, v48, v59
	ds_bpermute_b32 v48, v38, v72
	s_wait_dscnt 0x5
	v_dual_add_f32 v45, v47, v56 :: v_dual_add_f32 v83, v54, v69
	v_dual_cndmask_b32 v47, -v61, v61, s11 :: v_dual_cndmask_b32 v54, -v66, v66, s11
	v_dual_cndmask_b32 v55, -v57, v57, s11 :: v_dual_cndmask_b32 v56, -v67, v67, s11
	ds_bpermute_b32 v57, v39, v52
	ds_bpermute_b32 v59, v39, v68
	;; [unrolled: 1-line block ×5, first 2 shown]
	s_wait_dscnt 0x9
	v_add_f32_e32 v54, v54, v53
	ds_bpermute_b32 v53, v39, v74
	ds_bpermute_b32 v66, v39, v75
	;; [unrolled: 1-line block ×4, first 2 shown]
	s_wait_dscnt 0xa
	v_dual_add_f32 v47, v47, v49 :: v_dual_add_f32 v56, v56, v60
	v_dual_cndmask_b32 v49, -v72, v72, s10 :: v_dual_cndmask_b32 v62, -v62, v62, s10
	v_dual_add_f32 v55, v55, v58 :: v_dual_cndmask_b32 v60, -v65, v65, s11
	ds_bpermute_b32 v65, v38, v73
	s_wait_dscnt 0xa
	v_add_f32_e32 v84, v49, v48
	v_cndmask_b32_e64 v48, -v52, v52, s11
	v_dual_cndmask_b32 v49, -v68, v68, s11 :: v_dual_cndmask_b32 v52, -v71, v71, s11
	ds_bpermute_b32 v72, v39, v81
	s_wait_dscnt 0x7
	v_dual_add_f32 v57, v48, v57 :: v_dual_add_f32 v85, v62, v64
	v_dual_cndmask_b32 v48, -v74, v74, s11 :: v_dual_add_f32 v58, v49, v59
	v_dual_add_f32 v59, v52, v61 :: v_dual_cndmask_b32 v49, -v75, v75, s11
	v_dual_cndmask_b32 v64, -v80, v80, s11 :: v_dual_cndmask_b32 v52, -v79, v79, s11
	s_wait_dscnt 0x5
	s_delay_alu instid0(VALU_DEP_3)
	v_add_f32_e32 v61, v48, v53
	s_wait_dscnt 0x4
	v_dual_add_f32 v60, v60, v63 :: v_dual_add_f32 v62, v49, v66
	v_pk_add_f32 v[48:49], v[28:29], v[26:27]
	s_wait_dscnt 0x3
	v_add_f32_e32 v63, v52, v67
	v_pk_add_f32 v[52:53], v[32:33], v[30:31]
	v_pk_add_f32 v[66:67], v[26:27], v[28:29] neg_lo:[0,1] neg_hi:[0,1]
	s_wait_dscnt 0x2
	v_add_f32_e32 v64, v64, v69
	v_pk_add_f32 v[68:69], v[30:31], v[32:33] neg_lo:[0,1] neg_hi:[0,1]
	ds_bpermute_b32 v30, v38, v76
	v_dual_sub_f32 v32, v48, v52 :: v_dual_cndmask_b32 v33, -v73, v73, s10
	v_dual_sub_f32 v31, v49, v53 :: v_dual_sub_f32 v70, v66, v68
	v_dual_sub_f32 v71, v67, v69 :: v_dual_cndmask_b32 v73, -v82, v82, s11
	ds_bpermute_b32 v74, v39, v82
	ds_bpermute_b32 v26, v1, v32
	;; [unrolled: 1-line block ×7, first 2 shown]
	s_wait_dscnt 0x9
	v_dual_add_f32 v80, v33, v65 :: v_dual_cndmask_b32 v33, -v76, v76, s10
	v_dual_cndmask_b32 v65, -v81, v81, s11 :: v_dual_cndmask_b32 v76, -v78, v78, s11
	v_dual_cndmask_b32 v77, -v77, v77, s11 :: v_dual_cndmask_b32 v31, -v31, v31, s1
	s_wait_dscnt 0x7
	s_delay_alu instid0(VALU_DEP_3)
	v_dual_add_f32 v86, v33, v30 :: v_dual_cndmask_b32 v30, -v32, v32, s1
	v_dual_cndmask_b32 v33, -v71, v71, s1 :: v_dual_cndmask_b32 v32, -v70, v70, s1
	ds_bpermute_b32 v78, v39, v83
	v_add_f32_e32 v65, v65, v72
	ds_bpermute_b32 v81, v39, v84
	ds_bpermute_b32 v87, v39, v80
	v_pk_add_f32 v[48:49], v[52:53], v[48:49]
	s_wait_dscnt 0x7
	v_pk_add_f32 v[70:71], v[30:31], v[26:27]
	v_add_f32_e32 v26, v73, v74
	s_wait_dscnt 0x5
	v_pk_add_f32 v[72:73], v[32:33], v[28:29]
	s_wait_dscnt 0x4
	v_dual_add_f32 v27, v77, v75 :: v_dual_cndmask_b32 v30, -v84, v84, s11
	ds_bpermute_b32 v74, v50, v70
	ds_bpermute_b32 v75, v50, v71
	s_wait_dscnt 0x5
	v_add_f32_e32 v28, v76, v79
	ds_bpermute_b32 v76, v50, v72
	ds_bpermute_b32 v77, v50, v73
	v_cndmask_b32_e64 v29, -v83, v83, s11
	v_dual_cndmask_b32 v71, -v71, v71, s8 :: v_dual_cndmask_b32 v70, -v70, v70, s8
	v_dual_cndmask_b32 v73, -v73, v73, s8 :: v_dual_lshrrev_b32 v79, 5, v0
	s_wait_dscnt 0x6
	s_delay_alu instid0(VALU_DEP_3) | instskip(SKIP_3) | instid1(VALU_DEP_3)
	v_dual_add_f32 v29, v29, v78 :: v_dual_bitop2_b32 v78, 7, v0 bitop3:0x40
	v_dual_cndmask_b32 v72, -v72, v72, s8 :: v_dual_cndmask_b32 v31, -v85, v85, s11
	s_wait_dscnt 0x5
	v_dual_cndmask_b32 v32, -v80, v80, s11 :: v_dual_add_f32 v30, v30, v81
	v_dual_lshrrev_b32 v80, 3, v0 :: v_dual_lshlrev_b32 v81, 5, v78
	v_pk_add_f32 v[66:67], v[68:69], v[66:67]
	ds_bpermute_b32 v82, v39, v85
	ds_bpermute_b32 v88, v39, v86
	s_wait_dscnt 0x4
	v_pk_add_f32 v[70:71], v[70:71], v[74:75]
	v_bitop3_b32 v80, v81, v78, v80 bitop3:0x36
	ds_bpermute_b32 v78, v1, v66
	s_wait_dscnt 0x3
	v_pk_add_f32 v[72:73], v[72:73], v[76:77]
	v_xor_b32_e32 v76, v79, v0
	ds_bpermute_b32 v74, v51, v70
	ds_bpermute_b32 v75, v51, v71
	;; [unrolled: 1-line block ×3, first 2 shown]
	v_cndmask_b32_e64 v70, -v70, v70, s9
	v_lshl_add_u32 v52, v76, 4, 0
	ds_bpermute_b32 v76, v1, v48
	ds_bpermute_b32 v79, v1, v67
	;; [unrolled: 1-line block ×4, first 2 shown]
	v_dual_cndmask_b32 v71, -v71, v71, s9 :: v_dual_cndmask_b32 v73, -v73, v73, s9
	v_dual_cndmask_b32 v72, -v72, v72, s9 :: v_dual_cndmask_b32 v49, -v49, v49, s1
	;; [unrolled: 1-line block ×3, first 2 shown]
	v_dual_cndmask_b32 v33, -v86, v86, s11 :: v_dual_add_f32 v32, v32, v87
	ds_store_b128 v52, v[34:37]
	ds_store_b128 v52, v[40:43] offset:4096
	s_wait_dscnt 0xb
	v_add_f32_e32 v31, v31, v82
	v_lshl_add_u32 v53, v80, 4, 0
	s_wait_dscnt 0xa
	v_add_f32_e32 v33, v33, v88
	s_wait_dscnt 0x7
	v_pk_add_f32 v[70:71], v[70:71], v[74:75]
	v_cndmask_b32_e64 v66, -v66, v66, s1
	ds_store_b128 v52, v[44:47] offset:8192
	ds_store_b128 v52, v[54:57] offset:12288
	;; [unrolled: 1-line block ×6, first 2 shown]
	s_wait_dscnt 0x0
	v_pk_add_f32 v[36:37], v[48:49], v[76:77]
	v_cndmask_b32_e64 v27, -v71, v71, s10
	v_pk_add_f32 v[42:43], v[66:67], v[78:79]
	v_pk_add_f32 v[34:35], v[72:73], v[68:69]
	ds_bpermute_b32 v40, v38, v70
	ds_bpermute_b32 v66, v50, v36
	;; [unrolled: 1-line block ×6, first 2 shown]
	v_dual_cndmask_b32 v29, -v35, v35, s10 :: v_dual_cndmask_b32 v31, -v37, v37, s8
	v_dual_cndmask_b32 v30, -v36, v36, s8 :: v_dual_cndmask_b32 v33, -v43, v43, s8
	ds_bpermute_b32 v48, v38, v34
	ds_bpermute_b32 v49, v38, v35
	s_barrier_signal -1
	s_barrier_wait -1
	s_wait_dscnt 0x0
	v_pk_add_f32 v[30:31], v[30:31], v[66:67]
	v_cndmask_b32_e64 v32, -v42, v42, s8
	v_pk_add_f32 v[42:43], v[24:25], v[8:9]
	v_pk_add_f32 v[8:9], v[8:9], v[24:25] neg_lo:[0,1] neg_hi:[0,1]
	ds_bpermute_b32 v35, v51, v31
	v_cndmask_b32_e64 v31, -v31, v31, s9
	v_pk_add_f32 v[32:33], v[32:33], v[68:69]
	v_cndmask_b32_e64 v26, -v70, v70, s10
	ds_bpermute_b32 v36, v51, v32
	ds_bpermute_b32 v37, v51, v33
	v_pk_add_f32 v[26:27], v[26:27], v[40:41]
	v_pk_add_f32 v[40:41], v[4:5], v[2:3]
	v_cndmask_b32_e64 v28, -v34, v34, s10
	ds_bpermute_b32 v34, v51, v30
	v_cndmask_b32_e64 v30, -v30, v30, s9
	ds_bpermute_b32 v44, v39, v26
	v_sub_f32_e32 v54, v41, v43
	v_pk_add_f32 v[28:29], v[28:29], v[48:49]
	v_pk_add_f32 v[48:49], v[2:3], v[4:5] neg_lo:[0,1] neg_hi:[0,1]
	v_dual_sub_f32 v45, v40, v42 :: v_dual_cndmask_b32 v5, -v33, v33, s9
	v_cndmask_b32_e64 v4, -v32, v32, s9
	ds_bpermute_b32 v3, v1, v54
	v_dual_sub_f32 v55, v48, v8 :: v_dual_sub_f32 v56, v49, v9
	ds_bpermute_b32 v2, v1, v45
	ds_bpermute_b32 v46, v39, v28
	;; [unrolled: 1-line block ×3, first 2 shown]
	v_dual_cndmask_b32 v29, -v29, v29, s11 :: v_dual_cndmask_b32 v28, -v28, v28, s11
	s_wait_dscnt 0x6
	v_pk_add_f32 v[4:5], v[4:5], v[36:37]
	v_dual_cndmask_b32 v37, -v54, v54, s1 :: v_dual_cndmask_b32 v36, -v45, v45, s1
	s_wait_dscnt 0x5
	v_pk_add_f32 v[24:25], v[30:31], v[34:35]
	ds_bpermute_b32 v30, v1, v55
	ds_bpermute_b32 v31, v1, v56
	;; [unrolled: 1-line block ×7, first 2 shown]
	v_dual_cndmask_b32 v27, -v27, v27, s11 :: v_dual_cndmask_b32 v57, -v5, v5, s10
	v_pk_add_f32 v[40:41], v[42:43], v[40:41]
	v_pk_add_f32 v[42:43], v[8:9], v[48:49]
	s_wait_dscnt 0x9
	v_pk_add_f32 v[36:37], v[36:37], v[2:3]
	v_dual_cndmask_b32 v3, -v25, v25, s10 :: v_dual_cndmask_b32 v2, -v24, v24, s10
	v_dual_cndmask_b32 v25, -v56, v56, s1 :: v_dual_cndmask_b32 v24, -v55, v55, s1
	v_cndmask_b32_e64 v56, -v4, v4, s10
	ds_bpermute_b32 v54, v50, v36
	ds_bpermute_b32 v55, v50, v37
	v_dual_cndmask_b32 v26, -v26, v26, s11 :: v_dual_cndmask_b32 v37, -v37, v37, s8
	s_wait_dscnt 0x7
	v_pk_add_f32 v[24:25], v[24:25], v[30:31]
	v_pk_add_f32 v[4:5], v[28:29], v[46:47]
	s_wait_dscnt 0x5
	v_pk_add_f32 v[30:31], v[56:57], v[34:35]
	ds_bpermute_b32 v46, v1, v42
	s_wait_dscnt 0x4
	v_pk_add_f32 v[28:29], v[2:3], v[32:33]
	ds_bpermute_b32 v32, v50, v24
	ds_bpermute_b32 v33, v50, v25
	;; [unrolled: 1-line block ×4, first 2 shown]
	s_wait_dscnt 0x7
	v_pk_add_f32 v[2:3], v[26:27], v[44:45]
	ds_bpermute_b32 v44, v1, v40
	ds_bpermute_b32 v45, v1, v41
	;; [unrolled: 1-line block ×3, first 2 shown]
	v_dual_cndmask_b32 v36, -v36, v36, s8 :: v_dual_cndmask_b32 v25, -v25, v25, s8
	v_dual_cndmask_b32 v24, -v24, v24, s8 :: v_dual_cndmask_b32 v9, -v31, v31, s11
	v_cndmask_b32_e64 v8, -v30, v30, s11
	ds_bpermute_b32 v26, v39, v28
	s_wait_dscnt 0x9
	v_pk_add_f32 v[36:37], v[36:37], v[54:55]
	ds_bpermute_b32 v27, v39, v29
	v_dual_cndmask_b32 v29, -v29, v29, s11 :: v_dual_cndmask_b32 v28, -v28, v28, s11
	ds_bpermute_b32 v49, v51, v37
	v_cndmask_b32_e64 v37, -v37, v37, s9
	s_wait_dscnt 0x8
	v_pk_add_f32 v[24:25], v[24:25], v[32:33]
	v_cndmask_b32_e64 v33, -v41, v41, s1
	s_wait_dscnt 0x6
	v_pk_add_f32 v[8:9], v[8:9], v[34:35]
	v_dual_cndmask_b32 v32, -v40, v40, s1 :: v_dual_cndmask_b32 v35, -v43, v43, s1
	v_cndmask_b32_e64 v34, -v42, v42, s1
	ds_bpermute_b32 v30, v51, v24
	ds_bpermute_b32 v31, v51, v25
	s_wait_dscnt 0x6
	v_pk_add_f32 v[32:33], v[32:33], v[44:45]
	v_pk_add_f32 v[44:45], v[18:19], v[6:7]
	s_wait_dscnt 0x5
	v_pk_add_f32 v[34:35], v[34:35], v[46:47]
	v_pk_add_f32 v[46:47], v[22:23], v[20:21]
	v_pk_add_f32 v[18:19], v[6:7], v[18:19] neg_lo:[0,1] neg_hi:[0,1]
	ds_bpermute_b32 v40, v50, v32
	ds_bpermute_b32 v41, v50, v33
	;; [unrolled: 1-line block ×4, first 2 shown]
	v_pk_add_f32 v[20:21], v[20:21], v[22:23] neg_lo:[0,1] neg_hi:[0,1]
	ds_bpermute_b32 v48, v51, v36
	v_dual_cndmask_b32 v32, -v32, v32, s8 :: v_dual_sub_f32 v55, v45, v47
	v_dual_sub_f32 v54, v44, v46 :: v_dual_cndmask_b32 v7, -v35, v35, s8
	v_dual_sub_f32 v56, v18, v20 :: v_dual_sub_f32 v57, v19, v21
	v_dual_cndmask_b32 v6, -v34, v34, s8 :: v_dual_cndmask_b32 v36, -v36, v36, s9
	v_cndmask_b32_e64 v25, -v25, v25, s9
	ds_bpermute_b32 v34, v1, v56
	ds_bpermute_b32 v35, v1, v57
	v_dual_cndmask_b32 v24, -v24, v24, s9 :: v_dual_cndmask_b32 v33, -v33, v33, s8
	ds_bpermute_b32 v22, v1, v54
	ds_bpermute_b32 v23, v1, v55
	v_cndmask_b32_e64 v55, -v55, v55, s1
	s_wait_dscnt 0x9
	v_pk_add_f32 v[24:25], v[24:25], v[30:31]
	s_wait_dscnt 0x7
	v_pk_add_f32 v[30:31], v[32:33], v[40:41]
	;; [unrolled: 2-line block ×4, first 2 shown]
	v_dual_cndmask_b32 v54, -v54, v54, s1 :: v_dual_cndmask_b32 v57, -v57, v57, s1
	ds_bpermute_b32 v42, v51, v30
	ds_bpermute_b32 v43, v51, v31
	;; [unrolled: 1-line block ×4, first 2 shown]
	v_cndmask_b32_e64 v56, -v56, v56, s1
	ds_bpermute_b32 v32, v38, v36
	ds_bpermute_b32 v33, v38, v37
	v_dual_cndmask_b32 v37, -v37, v37, s10 :: v_dual_cndmask_b32 v31, -v31, v31, s9
	v_cndmask_b32_e64 v30, -v30, v30, s9
	s_wait_dscnt 0x8
	v_pk_add_f32 v[34:35], v[56:57], v[34:35]
	v_dual_cndmask_b32 v7, -v7, v7, s9 :: v_dual_cndmask_b32 v6, -v6, v6, s9
	s_wait_dscnt 0x6
	v_pk_add_f32 v[22:23], v[54:55], v[22:23]
	v_cndmask_b32_e64 v36, -v36, v36, s10
	ds_bpermute_b32 v56, v50, v34
	ds_bpermute_b32 v57, v50, v35
	v_cndmask_b32_e64 v35, -v35, v35, s8
	ds_bpermute_b32 v54, v50, v22
	ds_bpermute_b32 v55, v50, v23
	v_cndmask_b32_e64 v23, -v23, v23, s8
	s_wait_dscnt 0x8
	v_pk_add_f32 v[30:31], v[30:31], v[42:43]
	v_cndmask_b32_e64 v22, -v22, v22, s8
	s_wait_dscnt 0x6
	v_pk_add_f32 v[42:43], v[6:7], v[48:49]
	v_pk_add_f32 v[6:7], v[28:29], v[26:27]
	ds_bpermute_b32 v40, v38, v24
	s_wait_dscnt 0x5
	v_pk_add_f32 v[26:27], v[36:37], v[32:33]
	v_cndmask_b32_e64 v34, -v34, v34, s8
	ds_bpermute_b32 v32, v38, v42
	ds_bpermute_b32 v33, v38, v43
	;; [unrolled: 1-line block ×5, first 2 shown]
	v_cndmask_b32_e64 v27, -v27, v27, s11
	ds_bpermute_b32 v41, v38, v25
	v_dual_cndmask_b32 v43, -v43, v43, s10 :: v_dual_cndmask_b32 v42, -v42, v42, s10
	s_wait_dscnt 0x9
	v_pk_add_f32 v[34:35], v[34:35], v[56:57]
	v_dual_cndmask_b32 v31, -v31, v31, s10 :: v_dual_cndmask_b32 v30, -v30, v30, s10
	s_wait_dscnt 0x7
	v_pk_add_f32 v[22:23], v[22:23], v[54:55]
	v_dual_cndmask_b32 v25, -v25, v25, s10 :: v_dual_cndmask_b32 v24, -v24, v24, s10
	ds_bpermute_b32 v54, v51, v34
	ds_bpermute_b32 v55, v51, v35
	;; [unrolled: 1-line block ×5, first 2 shown]
	v_dual_cndmask_b32 v22, -v22, v22, s9 :: v_dual_cndmask_b32 v35, -v35, v35, s9
	s_wait_dscnt 0x9
	v_pk_add_f32 v[32:33], v[42:43], v[32:33]
	s_wait_dscnt 0x7
	v_pk_add_f32 v[28:29], v[30:31], v[28:29]
	v_cndmask_b32_e64 v34, -v34, v34, s9
	v_pk_add_f32 v[44:45], v[46:47], v[44:45]
	s_wait_dscnt 0x5
	v_pk_add_f32 v[24:25], v[24:25], v[40:41]
	ds_bpermute_b32 v30, v39, v32
	ds_bpermute_b32 v31, v39, v33
	v_dual_cndmask_b32 v33, -v33, v33, s11 :: v_dual_cndmask_b32 v23, -v23, v23, s9
	ds_bpermute_b32 v40, v39, v24
	v_cndmask_b32_e64 v24, -v24, v24, s11
	v_pk_add_f32 v[18:19], v[20:21], v[18:19]
	v_dual_cndmask_b32 v26, -v26, v26, s11 :: v_dual_cndmask_b32 v32, -v32, v32, s11
	s_wait_dscnt 0x6
	v_pk_add_f32 v[34:35], v[34:35], v[54:55]
	ds_bpermute_b32 v54, v1, v44
	ds_bpermute_b32 v55, v1, v45
	s_wait_dscnt 0x6
	v_pk_add_f32 v[42:43], v[22:23], v[48:49]
	ds_bpermute_b32 v48, v39, v28
	ds_bpermute_b32 v20, v38, v34
	;; [unrolled: 1-line block ×5, first 2 shown]
	v_cndmask_b32_e64 v25, -v25, v25, s11
	ds_bpermute_b32 v56, v1, v18
	ds_bpermute_b32 v57, v1, v19
	s_wait_dscnt 0xc
	v_pk_add_f32 v[22:23], v[26:27], v[36:37]
	v_cndmask_b32_e64 v27, -v29, v29, s11
	s_wait_dscnt 0xa
	v_pk_add_f32 v[32:33], v[32:33], v[30:31]
	v_dual_cndmask_b32 v31, -v45, v45, s1 :: v_dual_cndmask_b32 v30, -v44, v44, s1
	v_dual_cndmask_b32 v26, -v28, v28, s11 :: v_dual_cndmask_b32 v29, -v43, v43, s10
	v_dual_cndmask_b32 v28, -v42, v42, s10 :: v_dual_cndmask_b32 v35, -v35, v35, s10
	ds_bpermute_b32 v46, v38, v42
	s_wait_dscnt 0x8
	v_pk_add_f32 v[36:37], v[30:31], v[54:55]
	v_cndmask_b32_e64 v34, -v34, v34, s10
	ds_bpermute_b32 v47, v38, v43
	v_pk_add_f32 v[42:43], v[12:13], v[10:11]
	v_pk_add_f32 v[44:45], v[16:17], v[14:15]
	v_pk_add_f32 v[10:11], v[10:11], v[12:13] neg_lo:[0,1] neg_hi:[0,1]
	v_pk_add_f32 v[12:13], v[14:15], v[16:17] neg_lo:[0,1] neg_hi:[0,1]
	v_cndmask_b32_e64 v15, -v37, v37, s8
	s_wait_dscnt 0x6
	v_pk_add_f32 v[20:21], v[34:35], v[20:21]
	ds_bpermute_b32 v34, v50, v36
	ds_bpermute_b32 v35, v50, v37
	v_dual_cndmask_b32 v19, -v19, v19, s1 :: v_dual_cndmask_b32 v18, -v18, v18, s1
	s_wait_dscnt 0x7
	v_pk_add_f32 v[30:31], v[26:27], v[48:49]
	v_dual_sub_f32 v48, v42, v44 :: v_dual_sub_f32 v49, v43, v45
	v_dual_cndmask_b32 v14, -v36, v36, s8 :: v_dual_sub_f32 v54, v11, v13
	s_wait_dscnt 0x4
	v_pk_add_f32 v[18:19], v[18:19], v[56:57]
	v_sub_f32_e32 v56, v10, v12
	ds_bpermute_b32 v16, v1, v48
	ds_bpermute_b32 v17, v1, v49
	v_pk_add_f32 v[24:25], v[24:25], v[40:41]
	ds_bpermute_b32 v40, v50, v18
	ds_bpermute_b32 v41, v50, v19
	v_cndmask_b32_e64 v19, -v19, v19, s8
	ds_bpermute_b32 v36, v1, v56
	ds_bpermute_b32 v37, v1, v54
	v_dual_cndmask_b32 v49, -v49, v49, s1 :: v_dual_cndmask_b32 v48, -v48, v48, s1
	s_wait_dscnt 0x6
	v_pk_add_f32 v[14:15], v[14:15], v[34:35]
	ds_bpermute_b32 v34, v39, v20
	ds_bpermute_b32 v35, v39, v21
	v_pk_add_f32 v[28:29], v[28:29], v[46:47]
	v_cndmask_b32_e64 v18, -v18, v18, s8
	v_dual_cndmask_b32 v55, -v54, v54, s1 :: v_dual_cndmask_b32 v54, -v56, v56, s1
	v_cndmask_b32_e64 v21, -v21, v21, s11
	ds_bpermute_b32 v26, v39, v28
	ds_bpermute_b32 v27, v39, v29
	v_cndmask_b32_e64 v29, -v29, v29, s11
	s_wait_dscnt 0x8
	v_pk_add_f32 v[16:17], v[48:49], v[16:17]
	v_cndmask_b32_e64 v28, -v28, v28, s11
	v_cndmask_b32_e64 v20, -v20, v20, s11
	s_wait_dscnt 0x6
	v_pk_add_f32 v[18:19], v[18:19], v[40:41]
	ds_bpermute_b32 v40, v51, v14
	ds_bpermute_b32 v41, v51, v15
	s_wait_dscnt 0x6
	v_pk_add_f32 v[48:49], v[54:55], v[36:37]
	ds_bpermute_b32 v54, v50, v16
	ds_bpermute_b32 v55, v50, v17
	;; [unrolled: 1-line block ×4, first 2 shown]
	v_cndmask_b32_e64 v15, -v15, v15, s9
	s_wait_dscnt 0x8
	v_pk_add_f32 v[36:37], v[20:21], v[34:35]
	v_pk_add_f32 v[20:21], v[44:45], v[42:43]
	ds_bpermute_b32 v56, v50, v48
	ds_bpermute_b32 v57, v50, v49
	v_pk_add_f32 v[10:11], v[12:13], v[10:11]
	v_dual_cndmask_b32 v14, -v14, v14, s9 :: v_dual_cndmask_b32 v19, -v19, v19, s9
	ds_bpermute_b32 v12, v1, v20
	ds_bpermute_b32 v13, v1, v21
	v_dual_cndmask_b32 v18, -v18, v18, s9 :: v_dual_cndmask_b32 v17, -v17, v17, s8
	v_cndmask_b32_e64 v16, -v16, v16, s8
	s_wait_dscnt 0xa
	v_pk_add_f32 v[34:35], v[28:29], v[26:27]
	s_wait_dscnt 0x8
	v_pk_add_f32 v[14:15], v[14:15], v[40:41]
	ds_bpermute_b32 v28, v1, v10
	ds_bpermute_b32 v29, v1, v11
	v_cndmask_b32_e64 v41, -v49, v49, s8
	s_wait_dscnt 0x8
	v_pk_add_f32 v[16:17], v[16:17], v[54:55]
	s_wait_dscnt 0x6
	v_pk_add_f32 v[18:19], v[18:19], v[46:47]
	ds_bpermute_b32 v26, v38, v14
	v_dual_cndmask_b32 v40, -v48, v48, s8 :: v_dual_cndmask_b32 v21, -v21, v21, s1
	ds_bpermute_b32 v27, v38, v15
	ds_bpermute_b32 v44, v51, v16
	;; [unrolled: 1-line block ×3, first 2 shown]
	v_dual_cndmask_b32 v20, -v20, v20, s1 :: v_dual_cndmask_b32 v11, -v11, v11, s1
	ds_bpermute_b32 v42, v38, v18
	ds_bpermute_b32 v43, v38, v19
	s_wait_dscnt 0xa
	v_pk_add_f32 v[40:41], v[40:41], v[56:57]
	s_wait_dscnt 0x8
	v_pk_add_f32 v[12:13], v[20:21], v[12:13]
	v_dual_cndmask_b32 v10, -v10, v10, s1 :: v_dual_cndmask_b32 v15, -v15, v15, s10
	v_dual_cndmask_b32 v14, -v14, v14, s10 :: v_dual_cndmask_b32 v19, -v19, v19, s10
	ds_bpermute_b32 v46, v51, v40
	ds_bpermute_b32 v47, v51, v41
	;; [unrolled: 1-line block ×4, first 2 shown]
	s_wait_dscnt 0xa
	v_pk_add_f32 v[10:11], v[10:11], v[28:29]
	v_dual_cndmask_b32 v18, -v18, v18, s10 :: v_dual_cndmask_b32 v17, -v17, v17, s9
	v_dual_cndmask_b32 v16, -v16, v16, s9 :: v_dual_cndmask_b32 v29, -v41, v41, s9
	s_wait_dscnt 0x8
	v_pk_add_f32 v[14:15], v[14:15], v[26:27]
	ds_bpermute_b32 v26, v50, v10
	ds_bpermute_b32 v27, v50, v11
	s_wait_dscnt 0x8
	v_pk_add_f32 v[16:17], v[16:17], v[44:45]
	v_dual_cndmask_b32 v28, -v40, v40, s9 :: v_dual_cndmask_b32 v13, -v13, v13, s8
	s_wait_dscnt 0x6
	v_pk_add_f32 v[18:19], v[18:19], v[42:43]
	v_dual_cndmask_b32 v12, -v12, v12, s8 :: v_dual_cndmask_b32 v11, -v11, v11, s8
	ds_bpermute_b32 v42, v38, v16
	ds_bpermute_b32 v43, v38, v17
	v_dual_cndmask_b32 v10, -v10, v10, s8 :: v_dual_cndmask_b32 v55, -v15, v15, s11
	s_wait_dscnt 0x6
	v_pk_add_f32 v[28:29], v[28:29], v[46:47]
	s_wait_dscnt 0x4
	v_pk_add_f32 v[20:21], v[12:13], v[20:21]
	ds_bpermute_b32 v46, v39, v18
	ds_bpermute_b32 v47, v39, v19
	;; [unrolled: 1-line block ×7, first 2 shown]
	s_wait_dscnt 0x9
	v_pk_add_f32 v[26:27], v[10:11], v[26:27]
	v_dual_cndmask_b32 v11, -v17, v17, s10 :: v_dual_cndmask_b32 v10, -v16, v16, s10
	v_dual_cndmask_b32 v17, -v29, v29, s10 :: v_dual_cndmask_b32 v16, -v28, v28, s10
	ds_bpermute_b32 v56, v51, v26
	ds_bpermute_b32 v57, v51, v27
	;; [unrolled: 1-line block ×3, first 2 shown]
	s_wait_dscnt 0xa
	v_pk_add_f32 v[28:29], v[10:11], v[42:43]
	ds_load_b128 v[10:13], v53
	v_dual_cndmask_b32 v54, -v14, v14, s11 :: v_dual_cndmask_b32 v15, -v19, v19, s11
	v_dual_cndmask_b32 v14, -v18, v18, s11 :: v_dual_cndmask_b32 v19, -v21, v21, s9
	v_cndmask_b32_e64 v18, -v20, v20, s9
	ds_bpermute_b32 v59, v39, v29
	v_cndmask_b32_e64 v29, -v29, v29, s11
	s_wait_dscnt 0x7
	v_pk_add_f32 v[20:21], v[16:17], v[44:45]
	v_cndmask_b32_e64 v17, -v27, v27, s9
	s_wait_dscnt 0x5
	v_pk_add_f32 v[18:19], v[18:19], v[48:49]
	v_cndmask_b32_e64 v16, -v26, v26, s9
	v_pk_add_f32 v[44:45], v[14:15], v[46:47]
	ds_bpermute_b32 v26, v39, v20
	ds_bpermute_b32 v27, v39, v21
	;; [unrolled: 1-line block ×4, first 2 shown]
	s_wait_dscnt 0x7
	v_pk_add_f32 v[56:57], v[16:17], v[56:57]
	ds_load_b128 v[14:17], v53 offset:4096
	ds_bpermute_b32 v58, v39, v28
	s_wait_dscnt 0x7
	ds_bpermute_b32 v64, v1, v10
	ds_bpermute_b32 v65, v1, v11
	;; [unrolled: 1-line block ×6, first 2 shown]
	v_dual_cndmask_b32 v21, -v21, v21, s11 :: v_dual_cndmask_b32 v20, -v20, v20, s11
	v_dual_cndmask_b32 v28, -v28, v28, s11 :: v_dual_cndmask_b32 v19, -v19, v19, s10
	;; [unrolled: 1-line block ×4, first 2 shown]
	s_wait_dscnt 0xa
	v_pk_add_f32 v[48:49], v[20:21], v[26:27]
	v_dual_cndmask_b32 v21, -v57, v57, s10 :: v_dual_cndmask_b32 v20, -v56, v56, s10
	s_wait_dscnt 0x8
	v_pk_add_f32 v[18:19], v[18:19], v[60:61]
	v_cndmask_b32_e64 v10, -v10, v10, s1
	s_wait_dscnt 0x6
	v_pk_add_f32 v[46:47], v[28:29], v[58:59]
	v_pk_add_f32 v[42:43], v[54:55], v[40:41]
	ds_bpermute_b32 v40, v1, v16
	ds_bpermute_b32 v27, v39, v19
	v_cndmask_b32_e64 v19, -v19, v19, s11
	s_wait_dscnt 0x6
	v_pk_add_f32 v[10:11], v[10:11], v[64:65]
	s_wait_dscnt 0x4
	v_pk_add_f32 v[28:29], v[12:13], v[66:67]
	;; [unrolled: 2-line block ×3, first 2 shown]
	ds_bpermute_b32 v26, v39, v18
	ds_bpermute_b32 v41, v1, v17
	;; [unrolled: 1-line block ×10, first 2 shown]
	v_dual_cndmask_b32 v61, -v15, v15, s1 :: v_dual_cndmask_b32 v60, -v14, v14, s1
	ds_load_b128 v[12:15], v53 offset:8192
	v_dual_cndmask_b32 v20, -v20, v20, s11 :: v_dual_cndmask_b32 v11, -v11, v11, s8
	v_dual_cndmask_b32 v10, -v10, v10, s8 :: v_dual_cndmask_b32 v29, -v29, v29, s8
	;; [unrolled: 1-line block ×4, first 2 shown]
	s_wait_dscnt 0x7
	s_delay_alu instid0(VALU_DEP_3) | instskip(SKIP_1) | instid1(VALU_DEP_3)
	v_pk_add_f32 v[10:11], v[10:11], v[56:57]
	v_cndmask_b32_e64 v28, -v28, v28, s8
	v_pk_add_f32 v[16:17], v[16:17], v[40:41]
	s_wait_dscnt 0x5
	v_pk_add_f32 v[40:41], v[60:61], v[54:55]
	v_pk_add_f32 v[54:55], v[18:19], v[26:27]
	ds_bpermute_b32 v27, v51, v11
	v_cndmask_b32_e64 v11, -v11, v11, s9
	s_wait_dscnt 0x4
	v_pk_add_f32 v[28:29], v[28:29], v[58:59]
	ds_bpermute_b32 v60, v50, v16
	ds_bpermute_b32 v61, v50, v17
	s_wait_dscnt 0x4
	v_pk_add_f32 v[56:57], v[20:21], v[38:39]
	ds_load_b128 v[18:21], v53 offset:12288
	ds_bpermute_b32 v38, v51, v28
	ds_bpermute_b32 v39, v51, v29
	s_wait_dscnt 0x6
	ds_bpermute_b32 v58, v1, v12
	ds_bpermute_b32 v59, v1, v13
	;; [unrolled: 1-line block ×5, first 2 shown]
	v_dual_cndmask_b32 v17, -v17, v17, s8 :: v_dual_cndmask_b32 v16, -v16, v16, s8
	v_dual_cndmask_b32 v10, -v10, v10, s9 :: v_dual_cndmask_b32 v29, -v29, v29, s9
	;; [unrolled: 1-line block ×4, first 2 shown]
	v_cndmask_b32_e64 v40, -v40, v40, s8
	s_wait_dscnt 0x8
	v_pk_add_f32 v[16:17], v[16:17], v[60:61]
	ds_bpermute_b32 v60, v1, v14
	ds_bpermute_b32 v61, v1, v15
	v_cndmask_b32_e64 v15, -v15, v15, s1
	s_wait_dscnt 0x7
	v_pk_add_f32 v[12:13], v[28:29], v[38:39]
	v_cndmask_b32_e64 v14, -v14, v14, s1
	s_wait_dscnt 0x5
	v_pk_add_f32 v[38:39], v[64:65], v[58:59]
	ds_bpermute_b32 v58, v1, v18
	s_wait_dscnt 0x4
	v_pk_add_f32 v[40:41], v[40:41], v[62:63]
	ds_bpermute_b32 v62, v51, v16
	ds_bpermute_b32 v63, v51, v17
	s_wait_dscnt 0x5
	v_pk_add_f32 v[10:11], v[10:11], v[26:27]
	ds_bpermute_b32 v64, v50, v38
	ds_bpermute_b32 v65, v50, v39
	ds_load_b128 v[26:29], v53 offset:16384
	ds_bpermute_b32 v59, v1, v19
	ds_bpermute_b32 v68, v1, v20
	ds_bpermute_b32 v69, v1, v21
	v_dual_cndmask_b32 v17, -v17, v17, s9 :: v_dual_cndmask_b32 v16, -v16, v16, s9
	v_dual_cndmask_b32 v18, -v18, v18, s1 :: v_dual_cndmask_b32 v39, -v39, v39, s8
	s_wait_dscnt 0x9
	v_pk_add_f32 v[14:15], v[14:15], v[60:61]
	v_dual_cndmask_b32 v38, -v38, v38, s8 :: v_dual_cndmask_b32 v21, -v21, v21, s1
	ds_bpermute_b32 v66, v51, v40
	ds_bpermute_b32 v67, v51, v41
	v_dual_cndmask_b32 v61, -v41, v41, s9 :: v_dual_cndmask_b32 v60, -v40, v40, s9
	v_cndmask_b32_e64 v19, -v19, v19, s1
	s_wait_dscnt 0x8
	v_pk_add_f32 v[16:17], v[16:17], v[62:63]
	ds_bpermute_b32 v62, v50, v14
	ds_bpermute_b32 v63, v50, v15
	s_wait_dscnt 0x8
	v_pk_add_f32 v[64:65], v[38:39], v[64:65]
	ds_load_b128 v[38:41], v53 offset:20480
	s_wait_dscnt 0x8
	ds_bpermute_b32 v70, v1, v26
	ds_bpermute_b32 v71, v1, v27
	v_cndmask_b32_e64 v20, -v20, v20, s1
	s_wait_dscnt 0x9
	v_pk_add_f32 v[18:19], v[18:19], v[58:59]
	v_dual_cndmask_b32 v59, -v15, v15, s8 :: v_dual_cndmask_b32 v58, -v14, v14, s8
	v_cndmask_b32_e64 v27, -v27, v27, s1
	s_wait_dscnt 0x7
	v_pk_add_f32 v[20:21], v[20:21], v[68:69]
	ds_bpermute_b32 v68, v50, v18
	ds_bpermute_b32 v69, v50, v19
	v_cndmask_b32_e64 v26, -v26, v26, s1
	ds_bpermute_b32 v74, v1, v28
	ds_bpermute_b32 v72, v50, v20
	;; [unrolled: 1-line block ×4, first 2 shown]
	v_cndmask_b32_e64 v29, -v29, v29, s1
	s_wait_dscnt 0xb
	v_pk_add_f32 v[14:15], v[60:61], v[66:67]
	s_wait_dscnt 0x9
	v_pk_add_f32 v[58:59], v[58:59], v[62:63]
	ds_bpermute_b32 v60, v51, v64
	ds_bpermute_b32 v61, v51, v65
	v_dual_cndmask_b32 v28, -v28, v28, s1 :: v_dual_cndmask_b32 v19, -v19, v19, s8
	s_wait_dscnt 0x8
	v_pk_add_f32 v[26:27], v[26:27], v[70:71]
	ds_bpermute_b32 v62, v51, v58
	ds_bpermute_b32 v63, v51, v59
	v_dual_cndmask_b32 v18, -v18, v18, s8 :: v_dual_cndmask_b32 v21, -v21, v21, s8
	ds_bpermute_b32 v66, v50, v26
	ds_bpermute_b32 v67, v50, v27
	v_dual_cndmask_b32 v20, -v20, v20, s8 :: v_dual_cndmask_b32 v65, -v65, v65, s9
	s_wait_dscnt 0xa
	v_pk_add_f32 v[18:19], v[18:19], v[68:69]
	v_dual_cndmask_b32 v64, -v64, v64, s9 :: v_dual_cndmask_b32 v59, -v59, v59, s9
	s_wait_dscnt 0x7
	v_pk_add_f32 v[20:21], v[20:21], v[72:73]
	s_wait_dscnt 0x6
	v_pk_add_f32 v[28:29], v[28:29], v[74:75]
	ds_bpermute_b32 v68, v51, v18
	ds_bpermute_b32 v69, v51, v19
	v_dual_cndmask_b32 v58, -v58, v58, s9 :: v_dual_cndmask_b32 v75, -v19, v19, s9
	v_dual_cndmask_b32 v74, -v18, v18, s9 :: v_dual_cndmask_b32 v77, -v21, v21, s9
	;; [unrolled: 1-line block ×4, first 2 shown]
	ds_bpermute_b32 v70, v51, v20
	ds_bpermute_b32 v72, v50, v28
	;; [unrolled: 1-line block ×6, first 2 shown]
	s_wait_dscnt 0xa
	v_pk_add_f32 v[20:21], v[58:59], v[62:63]
	s_wait_dscnt 0x8
	v_pk_add_f32 v[62:63], v[18:19], v[66:67]
	v_pk_add_f32 v[18:19], v[64:65], v[60:61]
	ds_load_b128 v[58:61], v53 offset:24576
	ds_bpermute_b32 v66, v1, v40
	ds_bpermute_b32 v67, v1, v41
	v_dual_cndmask_b32 v26, -v28, v28, s8 :: v_dual_cndmask_b32 v39, -v39, v39, s1
	v_cndmask_b32_e64 v38, -v38, v38, s1
	s_wait_dscnt 0x6
	s_delay_alu instid0(VALU_DEP_2)
	v_pk_add_f32 v[64:65], v[26:27], v[72:73]
	v_pk_add_f32 v[26:27], v[74:75], v[68:69]
	v_dual_cndmask_b32 v73, -v41, v41, s1 :: v_dual_cndmask_b32 v72, -v40, v40, s1
	s_wait_dscnt 0x3
	v_pk_add_f32 v[74:75], v[38:39], v[78:79]
	ds_load_b128 v[38:41], v53 offset:28672
	s_wait_dscnt 0x0
	s_barrier_signal -1
	s_barrier_wait -1
	ds_store_b128 v52, v[6:9]
	ds_store_b128 v52, v[2:5] offset:4096
	ds_bpermute_b32 v4, v1, v60
	ds_bpermute_b32 v5, v1, v61
	;; [unrolled: 1-line block ×3, first 2 shown]
	v_cndmask_b32_e64 v63, -v63, v63, s9
	v_pk_add_f32 v[66:67], v[72:73], v[66:67]
	ds_bpermute_b32 v72, v50, v74
	ds_bpermute_b32 v73, v50, v75
	;; [unrolled: 1-line block ×4, first 2 shown]
	v_pk_add_f32 v[28:29], v[76:77], v[70:71]
	ds_bpermute_b32 v77, v50, v67
	v_dual_cndmask_b32 v67, -v67, v67, s8 :: v_dual_cndmask_b32 v61, -v61, v61, s1
	ds_store_b128 v52, v[30:33] offset:8192
	ds_store_b128 v52, v[22:25] offset:12288
	;; [unrolled: 1-line block ×6, first 2 shown]
	s_wait_dscnt 0x0
	s_barrier_signal -1
	s_barrier_wait -1
	ds_load_b128 v[6:9], v53
	ds_load_b128 v[30:33], v53 offset:4096
	v_dual_cndmask_b32 v60, -v60, v60, s1 :: v_dual_cndmask_b32 v23, -v59, v59, s1
	ds_bpermute_b32 v70, v51, v64
	v_dual_cndmask_b32 v64, -v64, v64, s9 :: v_dual_cndmask_b32 v75, -v75, v75, s8
	v_pk_add_f32 v[24:25], v[60:61], v[4:5]
	v_cndmask_b32_e64 v74, -v74, v74, s8
	ds_bpermute_b32 v76, v50, v66
	v_cndmask_b32_e64 v66, -v66, v66, s8
	ds_bpermute_b32 v68, v51, v62
	ds_bpermute_b32 v42, v50, v24
	v_cndmask_b32_e64 v24, -v24, v24, s8
	v_pk_add_f32 v[36:37], v[74:75], v[72:73]
	v_cndmask_b32_e64 v22, -v58, v58, s1
	ds_bpermute_b32 v43, v50, v25
	v_cndmask_b32_e64 v25, -v25, v25, s8
	ds_bpermute_b32 v71, v51, v65
	ds_bpermute_b32 v47, v51, v37
	v_cndmask_b32_e64 v37, -v37, v37, s9
	v_pk_add_f32 v[22:23], v[22:23], v[2:3]
	s_wait_dscnt 0x8
	ds_bpermute_b32 v54, v1, v6
	ds_bpermute_b32 v55, v1, v7
	;; [unrolled: 1-line block ×7, first 2 shown]
	s_wait_dscnt 0xc
	v_pk_add_f32 v[34:35], v[66:67], v[76:77]
	v_dual_cndmask_b32 v23, -v23, v23, s8 :: v_dual_cndmask_b32 v22, -v22, v22, s8
	v_dual_cndmask_b32 v7, -v7, v7, s1 :: v_dual_cndmask_b32 v6, -v6, v6, s1
	v_cndmask_b32_e64 v9, -v9, v9, s1
	ds_bpermute_b32 v48, v51, v34
	ds_bpermute_b32 v49, v51, v35
	s_wait_dscnt 0xb
	v_pk_add_f32 v[24:25], v[24:25], v[42:43]
	v_cndmask_b32_e64 v34, -v34, v34, s9
	v_dual_cndmask_b32 v62, -v62, v62, s9 :: v_dual_cndmask_b32 v65, -v65, v65, s9
	s_delay_alu instid0(VALU_DEP_3) | instskip(SKIP_2) | instid1(VALU_DEP_3)
	v_dual_cndmask_b32 v8, -v8, v8, s1 :: v_dual_cndmask_b32 v59, -v25, v25, s9
	s_wait_dscnt 0x7
	v_pk_add_f32 v[6:7], v[6:7], v[54:55]
	v_pk_add_f32 v[2:3], v[62:63], v[68:69]
	v_dual_cndmask_b32 v36, -v36, v36, s9 :: v_dual_cndmask_b32 v35, -v35, v35, s9
	s_wait_dscnt 0x3
	v_pk_add_f32 v[42:43], v[22:23], v[44:45]
	ds_bpermute_b32 v44, v51, v24
	ds_bpermute_b32 v45, v51, v25
	ds_bpermute_b32 v60, v50, v6
	ds_bpermute_b32 v61, v50, v7
	v_pk_add_f32 v[56:57], v[8:9], v[56:57]
	ds_bpermute_b32 v62, v1, v30
	ds_bpermute_b32 v63, v1, v31
	ds_bpermute_b32 v66, v1, v32
	ds_bpermute_b32 v67, v1, v33
	;; [unrolled: 5-line block ×3, first 2 shown]
	v_dual_cndmask_b32 v58, -v24, v24, s9 :: v_dual_cndmask_b32 v43, -v43, v43, s9
	s_wait_dscnt 0xc
	v_pk_add_f32 v[24:25], v[34:35], v[48:49]
	v_pk_add_f32 v[22:23], v[36:37], v[46:47]
	ds_load_b128 v[34:37], v53 offset:8192
	v_dual_cndmask_b32 v42, -v42, v42, s9 :: v_dual_cndmask_b32 v33, -v33, v33, s1
	s_wait_dscnt 0xb
	v_pk_add_f32 v[8:9], v[58:59], v[44:45]
	v_dual_cndmask_b32 v45, -v7, v7, s8 :: v_dual_cndmask_b32 v44, -v6, v6, s8
	v_dual_cndmask_b32 v7, -v31, v31, s1 :: v_dual_cndmask_b32 v6, -v30, v30, s1
	;; [unrolled: 1-line block ×3, first 2 shown]
	s_wait_dscnt 0x9
	s_delay_alu instid0(VALU_DEP_3)
	v_pk_add_f32 v[48:49], v[44:45], v[60:61]
	v_cndmask_b32_e64 v32, -v32, v32, s1
	s_wait_dscnt 0x7
	v_pk_add_f32 v[46:47], v[6:7], v[62:63]
	s_wait_dscnt 0x3
	v_pk_add_f32 v[6:7], v[42:43], v[54:55]
	ds_load_b128 v[42:45], v53 offset:12288
	ds_bpermute_b32 v57, v51, v49
	v_cndmask_b32_e64 v49, -v49, v49, s9
	v_pk_add_f32 v[32:33], v[32:33], v[66:67]
	s_wait_dscnt 0x3
	v_pk_add_f32 v[30:31], v[30:31], v[64:65]
	ds_bpermute_b32 v54, v50, v46
	ds_bpermute_b32 v55, v50, v47
	s_wait_dscnt 0x4
	ds_bpermute_b32 v60, v1, v34
	ds_bpermute_b32 v58, v50, v32
	ds_bpermute_b32 v59, v50, v33
	ds_bpermute_b32 v61, v1, v35
	ds_bpermute_b32 v56, v51, v48
	ds_bpermute_b32 v62, v1, v36
	ds_bpermute_b32 v63, v1, v37
	ds_bpermute_b32 v64, v51, v30
	ds_bpermute_b32 v65, v51, v31
	v_dual_cndmask_b32 v48, -v48, v48, s9 :: v_dual_cndmask_b32 v47, -v47, v47, s8
	v_dual_cndmask_b32 v46, -v46, v46, s8 :: v_dual_cndmask_b32 v31, -v31, v31, s9
	;; [unrolled: 1-line block ×5, first 2 shown]
	s_wait_dscnt 0x9
	v_pk_add_f32 v[46:47], v[46:47], v[54:55]
	v_cndmask_b32_e64 v36, -v36, v36, s1
	ds_bpermute_b32 v68, v1, v42
	s_wait_dscnt 0x7
	v_pk_add_f32 v[54:55], v[32:33], v[58:59]
	s_wait_dscnt 0x6
	v_pk_add_f32 v[34:35], v[34:35], v[60:61]
	ds_bpermute_b32 v69, v1, v43
	ds_bpermute_b32 v58, v51, v46
	ds_bpermute_b32 v59, v51, v47
	ds_bpermute_b32 v60, v51, v54
	ds_bpermute_b32 v61, v51, v55
	s_wait_dscnt 0x6
	v_pk_add_f32 v[32:33], v[30:31], v[64:65]
	v_pk_add_f32 v[30:31], v[48:49], v[56:57]
	v_cndmask_b32_e64 v57, -v47, v47, s9
	v_pk_add_f32 v[36:37], v[36:37], v[62:63]
	ds_bpermute_b32 v62, v50, v34
	ds_bpermute_b32 v63, v50, v35
	v_dual_cndmask_b32 v56, -v46, v46, s9 :: v_dual_cndmask_b32 v55, -v55, v55, s9
	ds_bpermute_b32 v66, v50, v36
	ds_bpermute_b32 v67, v50, v37
	;; [unrolled: 1-line block ×4, first 2 shown]
	ds_load_b128 v[46:49], v53 offset:16384
	v_dual_cndmask_b32 v54, -v54, v54, s9 :: v_dual_cndmask_b32 v35, -v35, v35, s8
	v_dual_cndmask_b32 v34, -v34, v34, s8 :: v_dual_cndmask_b32 v71, -v37, v37, s8
	;; [unrolled: 1-line block ×3, first 2 shown]
	v_cndmask_b32_e64 v70, -v36, v36, s8
	s_wait_dscnt 0x7
	v_pk_add_f32 v[36:37], v[54:55], v[60:61]
	v_cndmask_b32_e64 v78, -v39, v39, s1
	ds_bpermute_b32 v81, v1, v40
	v_pk_add_f32 v[54:55], v[42:43], v[68:69]
	v_cndmask_b32_e64 v43, -v45, v45, s1
	s_wait_dscnt 0x6
	v_pk_add_f32 v[62:63], v[34:35], v[62:63]
	v_cndmask_b32_e64 v42, -v44, v44, s1
	v_pk_add_f32 v[34:35], v[56:57], v[58:59]
	ds_bpermute_b32 v60, v50, v54
	s_wait_dscnt 0x5
	v_pk_add_f32 v[56:57], v[70:71], v[66:67]
	ds_bpermute_b32 v61, v50, v55
	ds_bpermute_b32 v59, v51, v63
	v_cndmask_b32_e64 v63, -v63, v63, s9
	s_wait_dscnt 0x5
	v_pk_add_f32 v[64:65], v[42:43], v[64:65]
	ds_load_b128 v[42:45], v53 offset:20480
	s_wait_dscnt 0x5
	ds_bpermute_b32 v70, v1, v46
	ds_bpermute_b32 v71, v1, v47
	;; [unrolled: 1-line block ×9, first 2 shown]
	v_dual_cndmask_b32 v62, -v62, v62, s9 :: v_dual_cndmask_b32 v55, -v55, v55, s8
	v_dual_cndmask_b32 v54, -v54, v54, s8 :: v_dual_cndmask_b32 v57, -v57, v57, s9
	;; [unrolled: 1-line block ×5, first 2 shown]
	s_wait_dscnt 0x9
	ds_bpermute_b32 v74, v1, v42
	ds_bpermute_b32 v75, v1, v43
	;; [unrolled: 1-line block ×4, first 2 shown]
	v_dual_cndmask_b32 v64, -v64, v64, s8 :: v_dual_cndmask_b32 v43, -v43, v43, s1
	v_pk_add_f32 v[54:55], v[54:55], v[60:61]
	s_wait_dscnt 0xb
	v_pk_add_f32 v[60:61], v[46:47], v[70:71]
	s_wait_dscnt 0x9
	v_pk_add_f32 v[48:49], v[48:49], v[72:73]
	s_wait_dscnt 0x7
	v_pk_add_f32 v[46:47], v[56:57], v[66:67]
	s_wait_dscnt 0x5
	v_pk_add_f32 v[56:57], v[64:65], v[68:69]
	v_dual_cndmask_b32 v42, -v42, v42, s1 :: v_dual_cndmask_b32 v45, -v45, v45, s1
	ds_bpermute_b32 v66, v50, v60
	ds_bpermute_b32 v67, v50, v61
	;; [unrolled: 1-line block ×4, first 2 shown]
	v_dual_cndmask_b32 v44, -v44, v44, s1 :: v_dual_cndmask_b32 v49, -v49, v49, s8
	v_cndmask_b32_e64 v48, -v48, v48, s8
	ds_bpermute_b32 v70, v51, v56
	s_wait_dscnt 0x7
	v_pk_add_f32 v[42:43], v[42:43], v[74:75]
	ds_bpermute_b32 v71, v51, v57
	s_wait_dscnt 0x6
	v_pk_add_f32 v[72:73], v[44:45], v[76:77]
	v_dual_cndmask_b32 v45, -v61, v61, s8 :: v_dual_cndmask_b32 v44, -v60, v60, s8
	ds_bpermute_b32 v60, v50, v42
	ds_bpermute_b32 v61, v50, v43
	;; [unrolled: 1-line block ×4, first 2 shown]
	v_cndmask_b32_e64 v57, -v57, v57, s9
	ds_bpermute_b32 v64, v51, v54
	ds_bpermute_b32 v65, v51, v55
	v_dual_cndmask_b32 v56, -v56, v56, s9 :: v_dual_cndmask_b32 v43, -v43, v43, s8
	s_wait_dscnt 0xa
	v_pk_add_f32 v[66:67], v[44:45], v[66:67]
	s_wait_dscnt 0x8
	v_pk_add_f32 v[48:49], v[48:49], v[68:69]
	v_pk_add_f32 v[44:45], v[62:63], v[58:59]
	v_dual_cndmask_b32 v42, -v42, v42, s8 :: v_dual_cndmask_b32 v59, -v73, v73, s8
	ds_bpermute_b32 v62, v51, v66
	ds_bpermute_b32 v68, v51, v48
	;; [unrolled: 1-line block ×4, first 2 shown]
	v_dual_cndmask_b32 v58, -v72, v72, s8 :: v_dual_cndmask_b32 v55, -v55, v55, s9
	ds_bpermute_b32 v76, v1, v38
	v_dual_cndmask_b32 v54, -v54, v54, s9 :: v_dual_cndmask_b32 v49, -v49, v49, s9
	s_wait_dscnt 0xb
	v_pk_add_f32 v[56:57], v[56:57], v[70:71]
	s_wait_dscnt 0x9
	v_pk_add_f32 v[42:43], v[42:43], v[60:61]
	;; [unrolled: 2-line block ×3, first 2 shown]
	ds_load_b128 v[58:61], v53 offset:24576
	v_dual_cndmask_b32 v48, -v48, v48, s9 :: v_dual_cndmask_b32 v67, -v67, v67, s9
	ds_bpermute_b32 v77, v1, v39
	v_cndmask_b32_e64 v66, -v66, v66, s9
	s_wait_dscnt 0x7
	v_pk_add_f32 v[54:55], v[54:55], v[64:65]
	v_cndmask_b32_e64 v38, -v38, v38, s1
	ds_bpermute_b32 v74, v51, v70
	ds_bpermute_b32 v75, v51, v71
	v_cndmask_b32_e64 v40, -v40, v40, s1
	s_wait_dscnt 0x6
	v_pk_add_f32 v[64:65], v[48:49], v[68:69]
	v_cndmask_b32_e64 v49, -v71, v71, s9
	s_wait_dscnt 0x5
	v_pk_add_f32 v[62:63], v[66:67], v[62:63]
	ds_load_b128 v[66:69], v53 offset:28672
	s_wait_dscnt 0x5
	v_add_f32_e32 v80, v38, v76
	v_cndmask_b32_e64 v48, -v70, v70, s9
	ds_bpermute_b32 v72, v51, v42
	v_dual_cndmask_b32 v42, -v42, v42, s9 :: v_dual_cndmask_b32 v85, -v41, v41, s1
	ds_bpermute_b32 v73, v51, v43
	s_wait_dscnt 0x6
	ds_bpermute_b32 v39, v1, v61
	v_cndmask_b32_e64 v61, -v61, v61, s1
	ds_bpermute_b32 v83, v50, v80
	s_wait_dscnt 0x7
	v_add_f32_e32 v82, v78, v77
	ds_bpermute_b32 v70, v1, v58
	ds_bpermute_b32 v71, v1, v59
	;; [unrolled: 1-line block ×3, first 2 shown]
	v_cndmask_b32_e64 v60, -v60, v60, s1
	ds_bpermute_b32 v84, v50, v82
	v_dual_cndmask_b32 v80, -v80, v80, s8 :: v_dual_cndmask_b32 v59, -v59, v59, s1
	v_dual_cndmask_b32 v58, -v58, v58, s1 :: v_dual_add_f32 v81, v40, v81
	v_cndmask_b32_e64 v82, -v82, v82, s8
	s_wait_dscnt 0x8
	ds_bpermute_b32 v76, v1, v66
	ds_bpermute_b32 v77, v1, v67
	;; [unrolled: 1-line block ×5, first 2 shown]
	v_dual_cndmask_b32 v66, -v66, v66, s1 :: v_dual_cndmask_b32 v69, -v69, v69, s1
	v_cndmask_b32_e64 v68, -v68, v68, s1
	s_wait_dscnt 0x9
	v_add_f32_e32 v80, v80, v83
	v_cndmask_b32_e64 v67, -v67, v67, s1
	ds_bpermute_b32 v83, v50, v81
	s_wait_dscnt 0x8
	v_pk_add_f32 v[40:41], v[58:59], v[70:71]
	s_wait_dscnt 0x7
	v_pk_add_f32 v[38:39], v[60:61], v[38:39]
	s_wait_dscnt 0x6
	v_dual_cndmask_b32 v43, -v43, v43, s9 :: v_dual_add_f32 v82, v82, v84
	v_cndmask_b32_e64 v86, -v80, v80, s9
	ds_bpermute_b32 v58, v50, v40
	ds_bpermute_b32 v59, v50, v41
	;; [unrolled: 1-line block ×4, first 2 shown]
	v_dual_cndmask_b32 v41, -v41, v41, s8 :: v_dual_cndmask_b32 v39, -v39, v39, s8
	s_wait_dscnt 0x8
	v_pk_add_f32 v[66:67], v[66:67], v[76:77]
	s_wait_dscnt 0x6
	v_pk_add_f32 v[68:69], v[68:69], v[78:79]
	s_wait_dscnt 0x5
	v_add_f32_e32 v1, v85, v1
	v_dual_cndmask_b32 v78, -v81, v81, s8 :: v_dual_cndmask_b32 v40, -v40, v40, s8
	ds_bpermute_b32 v70, v50, v66
	ds_bpermute_b32 v71, v50, v67
	;; [unrolled: 1-line block ×5, first 2 shown]
	v_cndmask_b32_e64 v38, -v38, v38, s8
	s_wait_dscnt 0x9
	v_dual_add_f32 v50, v78, v83 :: v_dual_cndmask_b32 v1, -v1, v1, s8
	ds_bpermute_b32 v83, v51, v82
	v_cndmask_b32_e64 v82, -v82, v82, s9
	s_wait_dscnt 0x8
	v_pk_add_f32 v[58:59], v[40:41], v[58:59]
	v_cndmask_b32_e64 v41, -v69, v69, s8
	s_wait_dscnt 0x6
	v_pk_add_f32 v[60:61], v[38:39], v[60:61]
	v_dual_cndmask_b32 v39, -v67, v67, s8 :: v_dual_cndmask_b32 v38, -v66, v66, s8
	v_cndmask_b32_e64 v40, -v68, v68, s8
	ds_bpermute_b32 v84, v51, v80
	ds_bpermute_b32 v85, v51, v50
	;; [unrolled: 1-line block ×4, first 2 shown]
	s_wait_dscnt 0x0
	v_pk_add_f32 v[68:69], v[38:39], v[70:71]
	v_add_f32_e32 v1, v1, v79
	s_barrier_signal -1
	v_pk_add_f32 v[70:71], v[40:41], v[76:77]
	ds_bpermute_b32 v76, v51, v60
	ds_bpermute_b32 v77, v51, v61
	v_cndmask_b32_e64 v40, -v50, v50, s9
	ds_bpermute_b32 v41, v51, v1
	ds_bpermute_b32 v78, v51, v68
	;; [unrolled: 1-line block ×5, first 2 shown]
	v_pk_add_f32 v[50:51], v[48:49], v[74:75]
	v_pk_add_f32 v[48:49], v[42:43], v[72:73]
	v_add_f32_e32 v39, v82, v83
	v_dual_cndmask_b32 v43, -v59, v59, s9 :: v_dual_cndmask_b32 v42, -v58, v58, s9
	v_dual_cndmask_b32 v59, -v61, v61, s9 :: v_dual_cndmask_b32 v58, -v60, v60, s9
	v_cndmask_b32_e64 v1, -v1, v1, s9
	v_dual_cndmask_b32 v73, -v69, v69, s9 :: v_dual_cndmask_b32 v71, -v71, v71, s9
	v_dual_cndmask_b32 v70, -v70, v70, s9 :: v_dual_cndmask_b32 v72, -v68, v68, s9
	v_dual_add_f32 v38, v86, v84 :: v_dual_add_f32 v40, v40, v85
	s_wait_dscnt 0x5
	v_pk_add_f32 v[60:61], v[58:59], v[76:77]
	s_wait_dscnt 0x4
	v_add_f32_e32 v41, v1, v41
	v_pk_add_f32 v[58:59], v[42:43], v[66:67]
	s_barrier_wait -1
	s_wait_dscnt 0x1
	v_pk_add_f32 v[68:69], v[70:71], v[80:81]
	s_wait_dscnt 0x0
	v_pk_add_f32 v[66:67], v[72:73], v[78:79]
	ds_store_b128 v53, v[10:13]
	ds_store_b128 v53, v[14:17] offset:4096
	ds_store_b128 v53, v[18:21] offset:8192
	;; [unrolled: 1-line block ×7, first 2 shown]
	s_wait_dscnt 0x0
	s_barrier_signal -1
	s_barrier_wait -1
	ds_load_b128 v[18:21], v52
	ds_load_b128 v[2:5], v52 offset:4096
	ds_load_b128 v[26:29], v52 offset:8192
	;; [unrolled: 1-line block ×7, first 2 shown]
	s_wait_dscnt 0x0
	s_barrier_signal -1
	s_barrier_wait -1
	ds_store_b128 v53, v[30:33]
	ds_store_b128 v53, v[34:37] offset:4096
	ds_store_b128 v53, v[44:47] offset:8192
	;; [unrolled: 1-line block ×7, first 2 shown]
	s_wait_dscnt 0x0
	s_barrier_signal -1
	s_barrier_wait -1
	ds_load_b128 v[46:49], v52
	ds_load_b128 v[54:57], v52 offset:8192
	ds_load_b128 v[30:33], v52 offset:16384
	;; [unrolled: 1-line block ×7, first 2 shown]
	s_mul_u64 s[8:9], s[18:19], s[20:21]
	s_delay_alu instid0(SALU_CYCLE_1)
	s_lshl_b64 s[8:9], s[8:9], 1
	v_pk_add_f32 v[84:85], v[20:21], v[28:29]
	v_pk_add_f32 v[82:83], v[18:19], v[26:27]
	;; [unrolled: 1-line block ×8, first 2 shown]
	s_add_nc_u64 s[8:9], s[14:15], s[8:9]
	v_pk_add_f32 v[68:69], v[84:85], v[88:89]
	v_pk_add_f32 v[66:67], v[82:83], v[86:87]
	v_pk_add_f32 v[74:75], v[100:101], v[106:107]
	v_pk_add_f32 v[72:73], v[98:99], v[102:103]
	s_wait_dscnt 0x6
	v_pk_add_f32 v[90:91], v[48:49], v[56:57]
	v_pk_add_f32 v[92:93], v[46:47], v[54:55]
	s_wait_dscnt 0x4
	v_pk_add_f32 v[94:95], v[32:33], v[36:37]
	v_pk_add_f32 v[96:97], v[30:31], v[34:35]
	;; [unrolled: 3-line block ×4, first 2 shown]
	v_pk_add_f32 v[70:71], v[90:91], v[94:95]
	v_pk_add_f32 v[80:81], v[92:93], v[96:97]
	s_delay_alu instid0(VALU_DEP_4) | instskip(NEXT) | instid1(VALU_DEP_4)
	v_pk_add_f32 v[78:79], v[108:109], v[112:113]
	v_pk_add_f32 v[76:77], v[104:105], v[110:111]
	s_and_saveexec_b32 s1, s7
	s_cbranch_execz .LBB24_18
; %bb.17:
	s_mov_b32 s10, s12
	s_mov_b32 s11, s12
	v_mov_b64_e32 v[120:121], s[12:13]
	v_mov_b64_e32 v[118:119], s[10:11]
	v_pk_add_f32 v[114:115], v[70:71], v[68:69]
	v_pk_add_f32 v[116:117], v[80:81], v[66:67]
	;; [unrolled: 1-line block ×4, first 2 shown]
	s_delay_alu instid0(VALU_DEP_3) | instskip(SKIP_1) | instid1(VALU_DEP_4)
	v_pk_mul_f32 v[116:117], v[120:121], v[116:117]
	v_pk_mul_f32 v[114:115], v[118:119], v[114:115]
	;; [unrolled: 1-line block ×3, first 2 shown]
	s_delay_alu instid0(VALU_DEP_4) | instskip(NEXT) | instid1(VALU_DEP_3)
	v_pk_mul_f32 v[120:121], v[120:121], v[124:125]
	v_cvt_pk_f16_f32 v115, v114, v115
	v_cvt_pk_f16_f32 v114, v116, v117
	s_delay_alu instid0(VALU_DEP_4) | instskip(NEXT) | instid1(VALU_DEP_4)
	v_cvt_pk_f16_f32 v117, v118, v119
	v_cvt_pk_f16_f32 v116, v120, v121
	global_store_b128 v0, v[114:117], s[8:9] scale_offset
.LBB24_18:
	s_wait_xcnt 0x0
	s_or_b32 exec_lo, exec_lo, s1
	v_dual_sub_f32 v117, v21, v29 :: v_dual_sub_f32 v116, v20, v28
	v_dual_sub_f32 v115, v19, v27 :: v_dual_sub_f32 v114, v18, v26
	;; [unrolled: 1-line block ×16, first 2 shown]
	v_pk_add_f32 v[0:1], v[116:117], v[122:123]
	v_pk_add_f32 v[2:3], v[114:115], v[38:39]
	v_pk_add_f32 v[8:9], v[56:57], v[58:59]
	v_pk_add_f32 v[10:11], v[46:47], v[54:55]
	v_pk_add_f32 v[4:5], v[120:121], v[126:127]
	v_pk_add_f32 v[6:7], v[118:119], v[124:125]
	v_pk_add_f32 v[12:13], v[40:41], v[52:53]
	v_pk_add_f32 v[14:15], v[48:49], v[42:43]
	s_and_saveexec_b32 s1, s5
	s_cbranch_execz .LBB24_20
; %bb.19:
	s_mov_b32 s10, s12
	s_mov_b32 s11, s12
	v_mov_b64_e32 v[22:23], s[12:13]
	v_mov_b64_e32 v[20:21], s[10:11]
	v_pk_add_f32 v[16:17], v[8:9], v[0:1]
	v_pk_add_f32 v[18:19], v[10:11], v[2:3]
	;; [unrolled: 1-line block ×4, first 2 shown]
	s_delay_alu instid0(VALU_DEP_3) | instskip(SKIP_1) | instid1(VALU_DEP_4)
	v_pk_mul_f32 v[18:19], v[22:23], v[18:19]
	v_pk_mul_f32 v[16:17], v[20:21], v[16:17]
	;; [unrolled: 1-line block ×3, first 2 shown]
	s_delay_alu instid0(VALU_DEP_4) | instskip(NEXT) | instid1(VALU_DEP_3)
	v_pk_mul_f32 v[22:23], v[22:23], v[26:27]
	v_cvt_pk_f16_f32 v17, v16, v17
	v_cvt_pk_f16_f32 v16, v18, v19
	s_delay_alu instid0(VALU_DEP_4) | instskip(NEXT) | instid1(VALU_DEP_4)
	v_cvt_pk_f16_f32 v19, v20, v21
	v_cvt_pk_f16_f32 v18, v22, v23
	global_store_b128 v133, v[16:19], s[8:9] scale_offset
.LBB24_20:
	s_wait_xcnt 0x0
	s_or_b32 exec_lo, exec_lo, s1
	v_dual_sub_f32 v21, v85, v89 :: v_dual_sub_f32 v20, v84, v88
	v_dual_sub_f32 v23, v83, v87 :: v_dual_sub_f32 v22, v82, v86
	;; [unrolled: 1-line block ×8, first 2 shown]
	s_and_saveexec_b32 s1, s2
	s_cbranch_execz .LBB24_22
; %bb.21:
	s_mov_b32 s10, s12
	s_mov_b32 s11, s12
	v_mov_b64_e32 v[44:45], s[12:13]
	v_mov_b64_e32 v[36:37], s[10:11]
	v_pk_add_f32 v[32:33], v[20:21], v[28:29]
	v_pk_add_f32 v[34:35], v[22:23], v[30:31]
	;; [unrolled: 1-line block ×4, first 2 shown]
	s_delay_alu instid0(VALU_DEP_3) | instskip(SKIP_1) | instid1(VALU_DEP_4)
	v_pk_mul_f32 v[34:35], v[44:45], v[34:35]
	v_pk_mul_f32 v[32:33], v[36:37], v[32:33]
	;; [unrolled: 1-line block ×3, first 2 shown]
	s_delay_alu instid0(VALU_DEP_4) | instskip(NEXT) | instid1(VALU_DEP_3)
	v_pk_mul_f32 v[44:45], v[44:45], v[60:61]
	v_cvt_pk_f16_f32 v33, v32, v33
	v_cvt_pk_f16_f32 v32, v34, v35
	s_delay_alu instid0(VALU_DEP_4) | instskip(NEXT) | instid1(VALU_DEP_4)
	v_cvt_pk_f16_f32 v35, v36, v37
	v_cvt_pk_f16_f32 v34, v44, v45
	global_store_b128 v130, v[32:35], s[8:9] scale_offset
.LBB24_22:
	s_wait_xcnt 0x0
	s_or_b32 exec_lo, exec_lo, s1
	v_dual_sub_f32 v37, v117, v123 :: v_dual_sub_f32 v36, v116, v122
	v_dual_sub_f32 v39, v115, v39 :: v_dual_sub_f32 v38, v114, v38
	;; [unrolled: 1-line block ×8, first 2 shown]
	s_and_saveexec_b32 s1, vcc_lo
	s_cbranch_execnz .LBB24_28
; %bb.23:
	s_or_b32 exec_lo, exec_lo, s1
	s_and_saveexec_b32 s1, s3
	s_cbranch_execnz .LBB24_29
.LBB24_24:
	s_or_b32 exec_lo, exec_lo, s1
	s_and_saveexec_b32 s1, s4
	s_cbranch_execnz .LBB24_30
.LBB24_25:
	s_or_b32 exec_lo, exec_lo, s1
	s_and_saveexec_b32 s1, s6
	s_cbranch_execnz .LBB24_31
.LBB24_26:
	s_or_b32 exec_lo, exec_lo, s1
	s_and_saveexec_b32 s1, s0
	s_cbranch_execnz .LBB24_32
.LBB24_27:
	s_sendmsg sendmsg(MSG_DEALLOC_VGPRS)
	s_endpgm
.LBB24_28:
	s_mov_b32 s10, s12
	s_mov_b32 s11, s12
	v_mov_b64_e32 v[54:55], s[12:13]
	v_mov_b64_e32 v[52:53], s[10:11]
	v_pk_add_f32 v[48:49], v[36:37], v[44:45]
	v_pk_add_f32 v[50:51], v[38:39], v[46:47]
	;; [unrolled: 1-line block ×4, first 2 shown]
	s_delay_alu instid0(VALU_DEP_3) | instskip(SKIP_1) | instid1(VALU_DEP_4)
	v_pk_mul_f32 v[50:51], v[54:55], v[50:51]
	v_pk_mul_f32 v[48:49], v[52:53], v[48:49]
	;; [unrolled: 1-line block ×3, first 2 shown]
	s_delay_alu instid0(VALU_DEP_4) | instskip(NEXT) | instid1(VALU_DEP_3)
	v_pk_mul_f32 v[54:55], v[54:55], v[58:59]
	v_cvt_pk_f16_f32 v49, v48, v49
	v_cvt_pk_f16_f32 v48, v50, v51
	s_delay_alu instid0(VALU_DEP_4) | instskip(NEXT) | instid1(VALU_DEP_4)
	v_cvt_pk_f16_f32 v51, v52, v53
	v_cvt_pk_f16_f32 v50, v54, v55
	global_store_b128 v128, v[48:51], s[8:9] scale_offset
	s_wait_xcnt 0x0
	s_or_b32 exec_lo, exec_lo, s1
	s_and_saveexec_b32 s1, s3
	s_cbranch_execz .LBB24_24
.LBB24_29:
	s_mov_b32 s2, s12
	s_mov_b32 s3, s12
	v_mov_b64_e32 v[52:53], s[12:13]
	v_mov_b64_e32 v[54:55], s[2:3]
	v_dual_sub_f32 v49, v69, v71 :: v_dual_sub_f32 v48, v68, v70
	v_dual_sub_f32 v51, v67, v81 :: v_dual_sub_f32 v50, v66, v80
	;; [unrolled: 1-line block ×4, first 2 shown]
	s_delay_alu instid0(VALU_DEP_4) | instskip(NEXT) | instid1(VALU_DEP_4)
	v_pk_mul_f32 v[48:49], v[54:55], v[48:49]
	v_pk_mul_f32 v[50:51], v[52:53], v[50:51]
	s_delay_alu instid0(VALU_DEP_4) | instskip(NEXT) | instid1(VALU_DEP_4)
	v_pk_mul_f32 v[54:55], v[54:55], v[56:57]
	v_pk_mul_f32 v[52:53], v[52:53], v[58:59]
	s_delay_alu instid0(VALU_DEP_4) | instskip(NEXT) | instid1(VALU_DEP_4)
	v_cvt_pk_f16_f32 v49, v48, v49
	v_cvt_pk_f16_f32 v48, v50, v51
	s_delay_alu instid0(VALU_DEP_4) | instskip(NEXT) | instid1(VALU_DEP_4)
	v_cvt_pk_f16_f32 v51, v54, v55
	v_cvt_pk_f16_f32 v50, v52, v53
	global_store_b128 v129, v[48:51], s[8:9] scale_offset
	s_wait_xcnt 0x0
	s_or_b32 exec_lo, exec_lo, s1
	s_and_saveexec_b32 s1, s4
	s_cbranch_execz .LBB24_25
.LBB24_30:
	s_mov_b32 s2, s12
	s_mov_b32 s3, s12
	v_dual_sub_f32 v1, v1, v9 :: v_dual_sub_f32 v0, v0, v8
	v_dual_sub_f32 v3, v3, v11 :: v_dual_sub_f32 v2, v2, v10
	v_mov_b64_e32 v[8:9], s[12:13]
	v_mov_b64_e32 v[10:11], s[2:3]
	v_dual_sub_f32 v5, v5, v13 :: v_dual_sub_f32 v4, v4, v12
	v_dual_sub_f32 v7, v7, v15 :: v_dual_sub_f32 v6, v6, v14
	s_delay_alu instid0(VALU_DEP_4) | instskip(NEXT) | instid1(VALU_DEP_4)
	v_pk_mul_f32 v[2:3], v[8:9], v[2:3]
	v_pk_mul_f32 v[0:1], v[10:11], v[0:1]
	s_delay_alu instid0(VALU_DEP_4) | instskip(NEXT) | instid1(VALU_DEP_4)
	v_pk_mul_f32 v[4:5], v[10:11], v[4:5]
	v_pk_mul_f32 v[6:7], v[8:9], v[6:7]
	s_delay_alu instid0(VALU_DEP_3) | instskip(SKIP_1) | instid1(VALU_DEP_4)
	v_cvt_pk_f16_f32 v1, v0, v1
	v_cvt_pk_f16_f32 v0, v2, v3
	;; [unrolled: 1-line block ×3, first 2 shown]
	s_delay_alu instid0(VALU_DEP_4)
	v_cvt_pk_f16_f32 v2, v6, v7
	global_store_b128 v131, v[0:3], s[8:9] scale_offset
	s_wait_xcnt 0x0
	s_or_b32 exec_lo, exec_lo, s1
	s_and_saveexec_b32 s1, s6
	s_cbranch_execz .LBB24_26
.LBB24_31:
	s_mov_b32 s2, s12
	s_mov_b32 s3, s12
	v_mov_b64_e32 v[4:5], s[12:13]
	v_mov_b64_e32 v[6:7], s[2:3]
	v_dual_sub_f32 v1, v21, v29 :: v_dual_sub_f32 v0, v20, v28
	v_dual_sub_f32 v3, v23, v31 :: v_dual_sub_f32 v2, v22, v30
	;; [unrolled: 1-line block ×4, first 2 shown]
	s_delay_alu instid0(VALU_DEP_4) | instskip(NEXT) | instid1(VALU_DEP_4)
	v_pk_mul_f32 v[0:1], v[6:7], v[0:1]
	v_pk_mul_f32 v[2:3], v[4:5], v[2:3]
	s_delay_alu instid0(VALU_DEP_4) | instskip(NEXT) | instid1(VALU_DEP_4)
	v_pk_mul_f32 v[6:7], v[6:7], v[8:9]
	v_pk_mul_f32 v[4:5], v[4:5], v[10:11]
	s_delay_alu instid0(VALU_DEP_4) | instskip(NEXT) | instid1(VALU_DEP_4)
	v_cvt_pk_f16_f32 v1, v0, v1
	v_cvt_pk_f16_f32 v0, v2, v3
	s_delay_alu instid0(VALU_DEP_4) | instskip(NEXT) | instid1(VALU_DEP_4)
	v_cvt_pk_f16_f32 v3, v6, v7
	v_cvt_pk_f16_f32 v2, v4, v5
	global_store_b128 v132, v[0:3], s[8:9] scale_offset
	s_wait_xcnt 0x0
	s_or_b32 exec_lo, exec_lo, s1
	s_and_saveexec_b32 s1, s0
	s_cbranch_execz .LBB24_27
.LBB24_32:
	v_mov_b64_e32 v[4:5], s[12:13]
	s_mov_b32 s13, s12
	v_dual_sub_f32 v1, v37, v45 :: v_dual_sub_f32 v0, v36, v44
	v_mov_b64_e32 v[8:9], s[12:13]
	v_dual_sub_f32 v3, v39, v47 :: v_dual_sub_f32 v2, v38, v46
	v_dual_sub_f32 v7, v33, v41 :: v_dual_sub_f32 v6, v32, v40
	;; [unrolled: 1-line block ×3, first 2 shown]
	s_delay_alu instid0(VALU_DEP_4) | instskip(NEXT) | instid1(VALU_DEP_4)
	v_pk_mul_f32 v[0:1], v[8:9], v[0:1]
	v_pk_mul_f32 v[2:3], v[4:5], v[2:3]
	s_delay_alu instid0(VALU_DEP_4) | instskip(NEXT) | instid1(VALU_DEP_4)
	v_pk_mul_f32 v[6:7], v[8:9], v[6:7]
	v_pk_mul_f32 v[4:5], v[4:5], v[10:11]
	s_delay_alu instid0(VALU_DEP_4) | instskip(NEXT) | instid1(VALU_DEP_4)
	v_cvt_pk_f16_f32 v1, v0, v1
	v_cvt_pk_f16_f32 v0, v2, v3
	s_delay_alu instid0(VALU_DEP_4) | instskip(NEXT) | instid1(VALU_DEP_4)
	v_cvt_pk_f16_f32 v3, v6, v7
	v_cvt_pk_f16_f32 v2, v4, v5
	global_store_b128 v134, v[0:3], s[8:9] scale_offset
	s_sendmsg sendmsg(MSG_DEALLOC_VGPRS)
	s_endpgm
	.section	.rodata,"a",@progbits
	.p2align	6, 0x0
	.amdhsa_kernel _Z30fast_hadamard_transform_kernelI37fast_hadamard_transform_kernel_traitsILi256ELi14E6__halfEEv18HadamardParamsBase
		.amdhsa_group_segment_fixed_size 0
		.amdhsa_private_segment_fixed_size 0
		.amdhsa_kernarg_size 312
		.amdhsa_user_sgpr_count 2
		.amdhsa_user_sgpr_dispatch_ptr 0
		.amdhsa_user_sgpr_queue_ptr 0
		.amdhsa_user_sgpr_kernarg_segment_ptr 1
		.amdhsa_user_sgpr_dispatch_id 0
		.amdhsa_user_sgpr_kernarg_preload_length 0
		.amdhsa_user_sgpr_kernarg_preload_offset 0
		.amdhsa_user_sgpr_private_segment_size 0
		.amdhsa_wavefront_size32 1
		.amdhsa_uses_dynamic_stack 0
		.amdhsa_enable_private_segment 0
		.amdhsa_system_sgpr_workgroup_id_x 1
		.amdhsa_system_sgpr_workgroup_id_y 0
		.amdhsa_system_sgpr_workgroup_id_z 0
		.amdhsa_system_sgpr_workgroup_info 0
		.amdhsa_system_vgpr_workitem_id 0
		.amdhsa_next_free_vgpr 135
		.amdhsa_next_free_sgpr 22
		.amdhsa_named_barrier_count 0
		.amdhsa_reserve_vcc 1
		.amdhsa_float_round_mode_32 0
		.amdhsa_float_round_mode_16_64 0
		.amdhsa_float_denorm_mode_32 3
		.amdhsa_float_denorm_mode_16_64 3
		.amdhsa_fp16_overflow 0
		.amdhsa_memory_ordered 1
		.amdhsa_forward_progress 1
		.amdhsa_inst_pref_size 123
		.amdhsa_round_robin_scheduling 0
		.amdhsa_exception_fp_ieee_invalid_op 0
		.amdhsa_exception_fp_denorm_src 0
		.amdhsa_exception_fp_ieee_div_zero 0
		.amdhsa_exception_fp_ieee_overflow 0
		.amdhsa_exception_fp_ieee_underflow 0
		.amdhsa_exception_fp_ieee_inexact 0
		.amdhsa_exception_int_div_zero 0
	.end_amdhsa_kernel
	.section	.text._Z30fast_hadamard_transform_kernelI37fast_hadamard_transform_kernel_traitsILi256ELi14E6__halfEEv18HadamardParamsBase,"axG",@progbits,_Z30fast_hadamard_transform_kernelI37fast_hadamard_transform_kernel_traitsILi256ELi14E6__halfEEv18HadamardParamsBase,comdat
.Lfunc_end24:
	.size	_Z30fast_hadamard_transform_kernelI37fast_hadamard_transform_kernel_traitsILi256ELi14E6__halfEEv18HadamardParamsBase, .Lfunc_end24-_Z30fast_hadamard_transform_kernelI37fast_hadamard_transform_kernel_traitsILi256ELi14E6__halfEEv18HadamardParamsBase
                                        ; -- End function
	.set _Z30fast_hadamard_transform_kernelI37fast_hadamard_transform_kernel_traitsILi256ELi14E6__halfEEv18HadamardParamsBase.num_vgpr, 135
	.set _Z30fast_hadamard_transform_kernelI37fast_hadamard_transform_kernel_traitsILi256ELi14E6__halfEEv18HadamardParamsBase.num_agpr, 0
	.set _Z30fast_hadamard_transform_kernelI37fast_hadamard_transform_kernel_traitsILi256ELi14E6__halfEEv18HadamardParamsBase.numbered_sgpr, 22
	.set _Z30fast_hadamard_transform_kernelI37fast_hadamard_transform_kernel_traitsILi256ELi14E6__halfEEv18HadamardParamsBase.num_named_barrier, 0
	.set _Z30fast_hadamard_transform_kernelI37fast_hadamard_transform_kernel_traitsILi256ELi14E6__halfEEv18HadamardParamsBase.private_seg_size, 0
	.set _Z30fast_hadamard_transform_kernelI37fast_hadamard_transform_kernel_traitsILi256ELi14E6__halfEEv18HadamardParamsBase.uses_vcc, 1
	.set _Z30fast_hadamard_transform_kernelI37fast_hadamard_transform_kernel_traitsILi256ELi14E6__halfEEv18HadamardParamsBase.uses_flat_scratch, 0
	.set _Z30fast_hadamard_transform_kernelI37fast_hadamard_transform_kernel_traitsILi256ELi14E6__halfEEv18HadamardParamsBase.has_dyn_sized_stack, 0
	.set _Z30fast_hadamard_transform_kernelI37fast_hadamard_transform_kernel_traitsILi256ELi14E6__halfEEv18HadamardParamsBase.has_recursion, 0
	.set _Z30fast_hadamard_transform_kernelI37fast_hadamard_transform_kernel_traitsILi256ELi14E6__halfEEv18HadamardParamsBase.has_indirect_call, 0
	.section	.AMDGPU.csdata,"",@progbits
; Kernel info:
; codeLenInByte = 15628
; TotalNumSgprs: 24
; NumVgprs: 135
; ScratchSize: 0
; MemoryBound: 0
; FloatMode: 240
; IeeeMode: 1
; LDSByteSize: 0 bytes/workgroup (compile time only)
; SGPRBlocks: 0
; VGPRBlocks: 8
; NumSGPRsForWavesPerEU: 24
; NumVGPRsForWavesPerEU: 135
; NamedBarCnt: 0
; Occupancy: 7
; WaveLimiterHint : 0
; COMPUTE_PGM_RSRC2:SCRATCH_EN: 0
; COMPUTE_PGM_RSRC2:USER_SGPR: 2
; COMPUTE_PGM_RSRC2:TRAP_HANDLER: 0
; COMPUTE_PGM_RSRC2:TGID_X_EN: 1
; COMPUTE_PGM_RSRC2:TGID_Y_EN: 0
; COMPUTE_PGM_RSRC2:TGID_Z_EN: 0
; COMPUTE_PGM_RSRC2:TIDIG_COMP_CNT: 0
	.section	.text._Z30fast_hadamard_transform_kernelI37fast_hadamard_transform_kernel_traitsILi256ELi15E6__halfEEv18HadamardParamsBase,"axG",@progbits,_Z30fast_hadamard_transform_kernelI37fast_hadamard_transform_kernel_traitsILi256ELi15E6__halfEEv18HadamardParamsBase,comdat
	.protected	_Z30fast_hadamard_transform_kernelI37fast_hadamard_transform_kernel_traitsILi256ELi15E6__halfEEv18HadamardParamsBase ; -- Begin function _Z30fast_hadamard_transform_kernelI37fast_hadamard_transform_kernel_traitsILi256ELi15E6__halfEEv18HadamardParamsBase
	.globl	_Z30fast_hadamard_transform_kernelI37fast_hadamard_transform_kernel_traitsILi256ELi15E6__halfEEv18HadamardParamsBase
	.p2align	8
	.type	_Z30fast_hadamard_transform_kernelI37fast_hadamard_transform_kernel_traitsILi256ELi15E6__halfEEv18HadamardParamsBase,@function
_Z30fast_hadamard_transform_kernelI37fast_hadamard_transform_kernel_traitsILi256ELi15E6__halfEEv18HadamardParamsBase: ; @_Z30fast_hadamard_transform_kernelI37fast_hadamard_transform_kernel_traitsILi256ELi15E6__halfEEv18HadamardParamsBase
; %bb.0:
	s_clause 0x1
	s_load_b128 s[24:27], s[0:1], 0x10
	s_load_b32 s18, s[0:1], 0x4
	s_bfe_u32 s2, ttmp6, 0x4000c
	s_load_b128 s[20:23], s[0:1], 0x28
	s_add_co_i32 s5, s2, 1
	s_load_b32 s2, s[0:1], 0x44
	s_and_b32 s3, ttmp6, 15
	s_mul_i32 s5, ttmp9, s5
	s_getreg_b32 s4, hwreg(HW_REG_IB_STS2, 6, 4)
	s_add_co_i32 s3, s3, s5
	s_cmp_eq_u32 s4, 0
	v_dual_mov_b32 v5, 0 :: v_dual_lshlrev_b32 v4, 3, v0
	s_cselect_b32 s28, ttmp9, s3
	v_dual_mov_b32 v1, 0 :: v_dual_mov_b32 v2, 0
	s_ashr_i32 s29, s28, 31
	v_dual_mov_b32 v3, 0 :: v_dual_mov_b32 v7, 0
	v_dual_mov_b32 v6, 0 :: v_dual_mov_b32 v8, 0
	s_wait_kmcnt 0x0
	s_mul_u64 s[4:5], s[24:25], s[28:29]
	v_cmp_gt_u32_e64 s15, s18, v4
	v_dual_mov_b32 v4, 0 :: v_dual_mov_b32 v9, 0
	s_lshl_b64 s[4:5], s[4:5], 1
	s_delay_alu instid0(SALU_CYCLE_1)
	s_add_nc_u64 s[16:17], s[20:21], s[4:5]
	s_and_saveexec_b32 s3, s15
	s_cbranch_execz .LBB25_2
; %bb.1:
	global_load_b128 v[6:9], v0, s[16:17] scale_offset
	s_wait_loadcnt 0x0
	v_cvt_f32_f16_e32 v4, v6
	v_lshrrev_b32_e32 v5, 16, v6
	v_cvt_f32_f16_e32 v6, v7
	v_dual_lshrrev_b32 v7, 16, v7 :: v_dual_lshrrev_b32 v10, 16, v8
	v_lshrrev_b32_e32 v11, 16, v9
	v_cvt_f32_f16_e32 v3, v8
	v_cvt_f32_f16_e32 v2, v9
	;; [unrolled: 1-line block ×6, first 2 shown]
.LBB25_2:
	s_or_b32 exec_lo, exec_lo, s3
	s_and_b32 s19, 0xffff, s2
	v_dual_mov_b32 v13, 0 :: v_dual_mov_b32 v10, 0
	s_set_vgpr_msb 64                       ;  msbs: dst=1 src0=0 src1=0 src2=0
	v_add_nc_u32_e32 v32 /*v288*/, s19, v0
	s_set_vgpr_msb 4                        ;  msbs: dst=0 src0=0 src1=1 src2=0
	v_dual_mov_b32 v12, 0 :: v_dual_mov_b32 v15, 0
	v_dual_mov_b32 v11, 0 :: v_dual_mov_b32 v14, 0
	s_delay_alu instid0(VALU_DEP_3) | instskip(SKIP_1) | instid1(VALU_DEP_1)
	v_lshlrev_b32_e32 v16, 3, v32 /*v288*/
	s_set_vgpr_msb 0                        ;  msbs: dst=0 src0=0 src1=0 src2=0
	v_cmp_gt_u32_e64 s14, s18, v16
	v_mov_b32_e32 v16, 0
	s_and_saveexec_b32 s2, s14
	s_cbranch_execz .LBB25_4
; %bb.3:
	s_set_vgpr_msb 1                        ;  msbs: dst=0 src0=1 src1=0 src2=0
	global_load_b128 v[12:15], v32 /*v288*/, s[16:17] scale_offset
	s_wait_loadcnt 0x0
	s_set_vgpr_msb 0                        ;  msbs: dst=0 src0=0 src1=0 src2=0
	v_cvt_f32_f16_e32 v11, v12
	v_lshrrev_b32_e32 v16, 16, v12
	v_cvt_f32_f16_e32 v12, v13
	v_lshrrev_b32_e32 v13, 16, v13
	v_cvt_f32_f16_e32 v10, v14
	v_dual_lshrrev_b32 v14, 16, v14 :: v_dual_lshrrev_b32 v17, 16, v15
	v_cvt_f32_f16_e32 v1, v15
	v_cvt_f32_f16_e32 v16, v16
	v_cvt_f32_f16_e32 v15, v13
	s_delay_alu instid0(VALU_DEP_4)
	v_cvt_f32_f16_e32 v14, v14
	v_cvt_f32_f16_e32 v13, v17
.LBB25_4:
	s_or_b32 exec_lo, exec_lo, s2
	s_set_vgpr_msb 0x44                     ;  msbs: dst=1 src0=0 src1=1 src2=0
	v_add_nc_u32_e32 v31 /*v287*/, s19, v32 /*v288*/
	s_set_vgpr_msb 4                        ;  msbs: dst=0 src0=0 src1=1 src2=0
	v_dual_mov_b32 v17, 0 :: v_dual_mov_b32 v20, 0
	v_dual_mov_b32 v22, 0 :: v_dual_mov_b32 v18, 0
	s_delay_alu instid0(VALU_DEP_3) | instskip(SKIP_3) | instid1(VALU_DEP_3)
	v_dual_lshlrev_b32 v25, 3, v31 /*v287*/ :: v_dual_mov_b32 v23, 0
	v_dual_mov_b32 v21, 0 :: v_dual_mov_b32 v24, 0
	v_mov_b32_e32 v19, 0
	s_set_vgpr_msb 0                        ;  msbs: dst=0 src0=0 src1=0 src2=0
	v_cmp_gt_u32_e64 s13, s18, v25
	v_mov_b32_e32 v25, 0
	s_and_saveexec_b32 s2, s13
	s_cbranch_execz .LBB25_6
; %bb.5:
	s_set_vgpr_msb 1                        ;  msbs: dst=0 src0=1 src1=0 src2=0
	global_load_b128 v[22:25], v31 /*v287*/, s[16:17] scale_offset
	s_wait_loadcnt 0x0
	s_set_vgpr_msb 0                        ;  msbs: dst=0 src0=0 src1=0 src2=0
	v_cvt_f32_f16_e32 v19, v22
	v_lshrrev_b32_e32 v22, 16, v22
	v_cvt_f32_f16_e32 v21, v23
	v_dual_lshrrev_b32 v23, 16, v23 :: v_dual_lshrrev_b32 v26, 16, v24
	v_lshrrev_b32_e32 v27, 16, v25
	v_cvt_f32_f16_e32 v18, v24
	v_cvt_f32_f16_e32 v20, v25
	v_cvt_f32_f16_e32 v25, v22
	v_cvt_f32_f16_e32 v24, v23
	v_cvt_f32_f16_e32 v23, v26
	v_cvt_f32_f16_e32 v22, v27
.LBB25_6:
	s_or_b32 exec_lo, exec_lo, s2
	s_set_vgpr_msb 0x44                     ;  msbs: dst=1 src0=0 src1=1 src2=0
	v_add_nc_u32_e32 v28 /*v284*/, s19, v31 /*v287*/
	s_set_vgpr_msb 4                        ;  msbs: dst=0 src0=0 src1=1 src2=0
	v_dual_mov_b32 v29, 0 :: v_dual_mov_b32 v26, 0
	v_dual_mov_b32 v28, 0 :: v_dual_mov_b32 v31, 0
	s_delay_alu instid0(VALU_DEP_3) | instskip(SKIP_2) | instid1(VALU_DEP_2)
	v_dual_lshlrev_b32 v32, 3, v28 /*v284*/ :: v_dual_mov_b32 v30, 0
	v_mov_b32_e32 v27, 0
	s_set_vgpr_msb 0                        ;  msbs: dst=0 src0=0 src1=0 src2=0
	v_cmp_gt_u32_e64 s10, s18, v32
	v_mov_b32_e32 v32, 0
	s_and_saveexec_b32 s2, s10
	s_cbranch_execz .LBB25_8
; %bb.7:
	s_set_vgpr_msb 1                        ;  msbs: dst=0 src0=1 src1=0 src2=0
	global_load_b128 v[28:31], v28 /*v284*/, s[16:17] scale_offset
	s_wait_loadcnt 0x0
	s_set_vgpr_msb 0                        ;  msbs: dst=0 src0=0 src1=0 src2=0
	v_cvt_f32_f16_e32 v27, v28
	v_lshrrev_b32_e32 v32, 16, v28
	v_cvt_f32_f16_e32 v28, v29
	v_lshrrev_b32_e32 v29, 16, v29
	v_cvt_f32_f16_e32 v26, v30
	v_dual_lshrrev_b32 v30, 16, v30 :: v_dual_lshrrev_b32 v33, 16, v31
	v_cvt_f32_f16_e32 v17, v31
	v_cvt_f32_f16_e32 v32, v32
	v_cvt_f32_f16_e32 v31, v29
	s_delay_alu instid0(VALU_DEP_4)
	v_cvt_f32_f16_e32 v30, v30
	v_cvt_f32_f16_e32 v29, v33
.LBB25_8:
	s_or_b32 exec_lo, exec_lo, s2
	s_set_vgpr_msb 0x44                     ;  msbs: dst=1 src0=0 src1=1 src2=0
	v_add_nc_u32_e32 v25 /*v281*/, s19, v28 /*v284*/
	s_set_vgpr_msb 4                        ;  msbs: dst=0 src0=0 src1=1 src2=0
	v_dual_mov_b32 v33, 0 :: v_dual_mov_b32 v36, 0
	v_dual_mov_b32 v38, 0 :: v_dual_mov_b32 v34, 0
	s_delay_alu instid0(VALU_DEP_3) | instskip(SKIP_3) | instid1(VALU_DEP_3)
	v_dual_lshlrev_b32 v41, 3, v25 /*v281*/ :: v_dual_mov_b32 v39, 0
	v_dual_mov_b32 v37, 0 :: v_dual_mov_b32 v40, 0
	v_mov_b32_e32 v35, 0
	s_set_vgpr_msb 0                        ;  msbs: dst=0 src0=0 src1=0 src2=0
	v_cmp_gt_u32_e64 s7, s18, v41
	v_mov_b32_e32 v41, 0
	s_and_saveexec_b32 s2, s7
	s_cbranch_execz .LBB25_10
; %bb.9:
	s_set_vgpr_msb 1                        ;  msbs: dst=0 src0=1 src1=0 src2=0
	global_load_b128 v[38:41], v25 /*v281*/, s[16:17] scale_offset
	s_wait_loadcnt 0x0
	s_set_vgpr_msb 0                        ;  msbs: dst=0 src0=0 src1=0 src2=0
	v_cvt_f32_f16_e32 v35, v38
	v_lshrrev_b32_e32 v38, 16, v38
	v_cvt_f32_f16_e32 v37, v39
	v_dual_lshrrev_b32 v39, 16, v39 :: v_dual_lshrrev_b32 v42, 16, v40
	v_lshrrev_b32_e32 v43, 16, v41
	v_cvt_f32_f16_e32 v34, v40
	v_cvt_f32_f16_e32 v36, v41
	v_cvt_f32_f16_e32 v41, v38
	v_cvt_f32_f16_e32 v40, v39
	v_cvt_f32_f16_e32 v39, v42
	v_cvt_f32_f16_e32 v38, v43
.LBB25_10:
	s_or_b32 exec_lo, exec_lo, s2
	s_set_vgpr_msb 0x44                     ;  msbs: dst=1 src0=0 src1=1 src2=0
	v_add_nc_u32_e32 v23 /*v279*/, s19, v25 /*v281*/
	s_set_vgpr_msb 4                        ;  msbs: dst=0 src0=0 src1=1 src2=0
	v_dual_mov_b32 v45, 0 :: v_dual_mov_b32 v42, 0
	v_dual_mov_b32 v44, 0 :: v_dual_mov_b32 v47, 0
	s_delay_alu instid0(VALU_DEP_3) | instskip(SKIP_2) | instid1(VALU_DEP_2)
	v_dual_lshlrev_b32 v48, 3, v23 /*v279*/ :: v_dual_mov_b32 v46, 0
	v_mov_b32_e32 v43, 0
	;; [unrolled: 64-line block ×3, first 2 shown]
	s_set_vgpr_msb 0                        ;  msbs: dst=0 src0=0 src1=0 src2=0
	v_cmp_gt_u32_e32 vcc_lo, s18, v64
	v_mov_b32_e32 v64, 0
	s_and_saveexec_b32 s3, vcc_lo
	s_cbranch_execz .LBB25_16
; %bb.15:
	s_set_vgpr_msb 1                        ;  msbs: dst=0 src0=1 src1=0 src2=0
	global_load_b128 v[60:63], v18 /*v274*/, s[16:17] scale_offset
	s_wait_loadcnt 0x0
	s_set_vgpr_msb 0                        ;  msbs: dst=0 src0=0 src1=0 src2=0
	v_cvt_f32_f16_e32 v59, v60
	v_lshrrev_b32_e32 v64, 16, v60
	v_cvt_f32_f16_e32 v60, v61
	v_lshrrev_b32_e32 v61, 16, v61
	v_cvt_f32_f16_e32 v58, v62
	v_dual_lshrrev_b32 v62, 16, v62 :: v_dual_lshrrev_b32 v65, 16, v63
	v_cvt_f32_f16_e32 v49, v63
	v_cvt_f32_f16_e32 v64, v64
	v_cvt_f32_f16_e32 v63, v61
	s_delay_alu instid0(VALU_DEP_4)
	v_cvt_f32_f16_e32 v62, v62
	v_cvt_f32_f16_e32 v61, v65
.LBB25_16:
	s_or_b32 exec_lo, exec_lo, s3
	s_set_vgpr_msb 0x44                     ;  msbs: dst=1 src0=0 src1=1 src2=0
	v_add_nc_u32_e32 v19 /*v275*/, s19, v18 /*v274*/
	s_set_vgpr_msb 4                        ;  msbs: dst=0 src0=0 src1=1 src2=0
	v_dual_mov_b32 v65, 0 :: v_dual_mov_b32 v68, 0
	v_dual_mov_b32 v70, 0 :: v_dual_mov_b32 v66, 0
	s_delay_alu instid0(VALU_DEP_3) | instskip(SKIP_3) | instid1(VALU_DEP_3)
	v_dual_lshlrev_b32 v73, 3, v19 /*v275*/ :: v_dual_mov_b32 v71, 0
	v_dual_mov_b32 v69, 0 :: v_dual_mov_b32 v72, 0
	v_mov_b32_e32 v67, 0
	s_set_vgpr_msb 0                        ;  msbs: dst=0 src0=0 src1=0 src2=0
	v_cmp_gt_u32_e64 s3, s18, v73
	v_mov_b32_e32 v73, 0
	s_and_saveexec_b32 s4, s3
	s_cbranch_execz .LBB25_18
; %bb.17:
	s_set_vgpr_msb 1                        ;  msbs: dst=0 src0=1 src1=0 src2=0
	global_load_b128 v[70:73], v19 /*v275*/, s[16:17] scale_offset
	s_wait_loadcnt 0x0
	s_set_vgpr_msb 0                        ;  msbs: dst=0 src0=0 src1=0 src2=0
	v_cvt_f32_f16_e32 v67, v70
	v_lshrrev_b32_e32 v70, 16, v70
	v_cvt_f32_f16_e32 v69, v71
	v_dual_lshrrev_b32 v71, 16, v71 :: v_dual_lshrrev_b32 v74, 16, v72
	v_lshrrev_b32_e32 v75, 16, v73
	v_cvt_f32_f16_e32 v66, v72
	v_cvt_f32_f16_e32 v68, v73
	v_cvt_f32_f16_e32 v73, v70
	v_cvt_f32_f16_e32 v72, v71
	v_cvt_f32_f16_e32 v71, v74
	v_cvt_f32_f16_e32 v70, v75
.LBB25_18:
	s_or_b32 exec_lo, exec_lo, s4
	s_set_vgpr_msb 0x44                     ;  msbs: dst=1 src0=0 src1=1 src2=0
	v_add_nc_u32_e32 v21 /*v277*/, s19, v19 /*v275*/
	s_set_vgpr_msb 4                        ;  msbs: dst=0 src0=0 src1=1 src2=0
	v_dual_mov_b32 v77, 0 :: v_dual_mov_b32 v74, 0
	v_dual_mov_b32 v76, 0 :: v_dual_mov_b32 v79, 0
	s_delay_alu instid0(VALU_DEP_3) | instskip(SKIP_2) | instid1(VALU_DEP_2)
	v_dual_lshlrev_b32 v80, 3, v21 /*v277*/ :: v_dual_mov_b32 v78, 0
	v_mov_b32_e32 v75, 0
	s_set_vgpr_msb 0                        ;  msbs: dst=0 src0=0 src1=0 src2=0
	v_cmp_gt_u32_e64 s4, s18, v80
	v_mov_b32_e32 v80, 0
	s_and_saveexec_b32 s6, s4
	s_cbranch_execz .LBB25_20
; %bb.19:
	s_set_vgpr_msb 1                        ;  msbs: dst=0 src0=1 src1=0 src2=0
	global_load_b128 v[76:79], v21 /*v277*/, s[16:17] scale_offset
	s_wait_loadcnt 0x0
	s_set_vgpr_msb 0                        ;  msbs: dst=0 src0=0 src1=0 src2=0
	v_cvt_f32_f16_e32 v75, v76
	v_lshrrev_b32_e32 v80, 16, v76
	v_cvt_f32_f16_e32 v76, v77
	v_lshrrev_b32_e32 v77, 16, v77
	v_cvt_f32_f16_e32 v74, v78
	v_dual_lshrrev_b32 v78, 16, v78 :: v_dual_lshrrev_b32 v81, 16, v79
	v_cvt_f32_f16_e32 v65, v79
	v_cvt_f32_f16_e32 v80, v80
	v_cvt_f32_f16_e32 v79, v77
	s_delay_alu instid0(VALU_DEP_4)
	v_cvt_f32_f16_e32 v78, v78
	v_cvt_f32_f16_e32 v77, v81
.LBB25_20:
	s_or_b32 exec_lo, exec_lo, s6
	s_set_vgpr_msb 0x44                     ;  msbs: dst=1 src0=0 src1=1 src2=0
	v_add_nc_u32_e32 v22 /*v278*/, s19, v21 /*v277*/
	s_set_vgpr_msb 4                        ;  msbs: dst=0 src0=0 src1=1 src2=0
	v_dual_mov_b32 v81, 0 :: v_dual_mov_b32 v84, 0
	v_dual_mov_b32 v86, 0 :: v_dual_mov_b32 v82, 0
	s_delay_alu instid0(VALU_DEP_3) | instskip(SKIP_3) | instid1(VALU_DEP_3)
	v_dual_lshlrev_b32 v89, 3, v22 /*v278*/ :: v_dual_mov_b32 v87, 0
	v_dual_mov_b32 v85, 0 :: v_dual_mov_b32 v88, 0
	v_mov_b32_e32 v83, 0
	s_set_vgpr_msb 0                        ;  msbs: dst=0 src0=0 src1=0 src2=0
	v_cmp_gt_u32_e64 s6, s18, v89
	v_mov_b32_e32 v89, 0
	s_and_saveexec_b32 s8, s6
	s_cbranch_execz .LBB25_22
; %bb.21:
	s_set_vgpr_msb 1                        ;  msbs: dst=0 src0=1 src1=0 src2=0
	global_load_b128 v[86:89], v22 /*v278*/, s[16:17] scale_offset
	s_wait_loadcnt 0x0
	s_set_vgpr_msb 0                        ;  msbs: dst=0 src0=0 src1=0 src2=0
	v_cvt_f32_f16_e32 v83, v86
	v_lshrrev_b32_e32 v86, 16, v86
	v_cvt_f32_f16_e32 v85, v87
	v_dual_lshrrev_b32 v87, 16, v87 :: v_dual_lshrrev_b32 v90, 16, v88
	v_lshrrev_b32_e32 v91, 16, v89
	v_cvt_f32_f16_e32 v82, v88
	v_cvt_f32_f16_e32 v84, v89
	v_cvt_f32_f16_e32 v89, v86
	v_cvt_f32_f16_e32 v88, v87
	v_cvt_f32_f16_e32 v87, v90
	v_cvt_f32_f16_e32 v86, v91
.LBB25_22:
	s_or_b32 exec_lo, exec_lo, s8
	s_set_vgpr_msb 0x44                     ;  msbs: dst=1 src0=0 src1=1 src2=0
	v_add_nc_u32_e32 v24 /*v280*/, s19, v22 /*v278*/
	s_set_vgpr_msb 4                        ;  msbs: dst=0 src0=0 src1=1 src2=0
	v_dual_mov_b32 v93, 0 :: v_dual_mov_b32 v90, 0
	v_dual_mov_b32 v92, 0 :: v_dual_mov_b32 v95, 0
	s_delay_alu instid0(VALU_DEP_3) | instskip(SKIP_2) | instid1(VALU_DEP_2)
	v_dual_lshlrev_b32 v96, 3, v24 /*v280*/ :: v_dual_mov_b32 v94, 0
	v_mov_b32_e32 v91, 0
	s_set_vgpr_msb 0                        ;  msbs: dst=0 src0=0 src1=0 src2=0
	v_cmp_gt_u32_e64 s8, s18, v96
	v_mov_b32_e32 v96, 0
	s_and_saveexec_b32 s9, s8
	;; [unrolled: 64-line block ×3, first 2 shown]
	s_cbranch_execz .LBB25_28
; %bb.27:
	s_set_vgpr_msb 1                        ;  msbs: dst=0 src0=1 src1=0 src2=0
	global_load_b128 v[108:111], v27 /*v283*/, s[16:17] scale_offset
	s_wait_loadcnt 0x0
	s_set_vgpr_msb 0                        ;  msbs: dst=0 src0=0 src1=0 src2=0
	v_cvt_f32_f16_e32 v107, v108
	v_lshrrev_b32_e32 v112, 16, v108
	v_cvt_f32_f16_e32 v108, v109
	v_lshrrev_b32_e32 v109, 16, v109
	v_cvt_f32_f16_e32 v106, v110
	v_dual_lshrrev_b32 v110, 16, v110 :: v_dual_lshrrev_b32 v113, 16, v111
	v_cvt_f32_f16_e32 v97, v111
	v_cvt_f32_f16_e32 v112, v112
	v_cvt_f32_f16_e32 v111, v109
	s_delay_alu instid0(VALU_DEP_4)
	v_cvt_f32_f16_e32 v110, v110
	v_cvt_f32_f16_e32 v109, v113
.LBB25_28:
	s_or_b32 exec_lo, exec_lo, s12
	s_set_vgpr_msb 0x44                     ;  msbs: dst=1 src0=0 src1=1 src2=0
	v_add_nc_u32_e32 v29 /*v285*/, s19, v27 /*v283*/
	s_set_vgpr_msb 4                        ;  msbs: dst=0 src0=0 src1=1 src2=0
	v_dual_mov_b32 v113, 0 :: v_dual_mov_b32 v116, 0
	v_dual_mov_b32 v118, 0 :: v_dual_mov_b32 v114, 0
	s_delay_alu instid0(VALU_DEP_3) | instskip(SKIP_3) | instid1(VALU_DEP_3)
	v_dual_lshlrev_b32 v121, 3, v29 /*v285*/ :: v_dual_mov_b32 v119, 0
	v_dual_mov_b32 v117, 0 :: v_dual_mov_b32 v120, 0
	v_mov_b32_e32 v115, 0
	s_set_vgpr_msb 0                        ;  msbs: dst=0 src0=0 src1=0 src2=0
	v_cmp_gt_u32_e64 s12, s18, v121
	v_mov_b32_e32 v121, 0
	s_and_saveexec_b32 s20, s12
	s_cbranch_execz .LBB25_30
; %bb.29:
	s_set_vgpr_msb 1                        ;  msbs: dst=0 src0=1 src1=0 src2=0
	global_load_b128 v[118:121], v29 /*v285*/, s[16:17] scale_offset
	s_wait_loadcnt 0x0
	s_set_vgpr_msb 0                        ;  msbs: dst=0 src0=0 src1=0 src2=0
	v_cvt_f32_f16_e32 v115, v118
	v_lshrrev_b32_e32 v118, 16, v118
	v_cvt_f32_f16_e32 v117, v119
	v_dual_lshrrev_b32 v119, 16, v119 :: v_dual_lshrrev_b32 v122, 16, v120
	v_lshrrev_b32_e32 v123, 16, v121
	v_cvt_f32_f16_e32 v114, v120
	v_cvt_f32_f16_e32 v116, v121
	;; [unrolled: 1-line block ×6, first 2 shown]
.LBB25_30:
	s_or_b32 exec_lo, exec_lo, s20
	s_load_b32 s20, s[0:1], 0x20
	s_set_vgpr_msb 0x44                     ;  msbs: dst=1 src0=0 src1=1 src2=0
	v_add_nc_u32_e32 v30 /*v286*/, s19, v29 /*v285*/
	s_set_vgpr_msb 4                        ;  msbs: dst=0 src0=0 src1=1 src2=0
	v_dual_mov_b32 v124, 0 :: v_dual_mov_b32 v127, 0
	v_dual_mov_b32 v123, 0 :: v_dual_mov_b32 v128, 0
	s_delay_alu instid0(VALU_DEP_3) | instskip(SKIP_3) | instid1(VALU_DEP_2)
	v_dual_mov_b32 v125, 0 :: v_dual_lshlrev_b32 v122, 3, v30 /*v286*/
	v_mov_b32_e32 v126, 0
	s_wait_xcnt 0x0
	s_set_vgpr_msb 0                        ;  msbs: dst=0 src0=0 src1=0 src2=0
	v_cmp_gt_u32_e64 s0, s18, v122
	v_mov_b32_e32 v122, 0
	s_and_saveexec_b32 s1, s0
	s_cbranch_execz .LBB25_32
; %bb.31:
	s_set_vgpr_msb 1                        ;  msbs: dst=0 src0=1 src1=0 src2=0
	global_load_b128 v[124:127], v30 /*v286*/, s[16:17] scale_offset
	s_wait_loadcnt 0x0
	s_set_vgpr_msb 0                        ;  msbs: dst=0 src0=0 src1=0 src2=0
	v_cvt_f32_f16_e32 v123, v124
	v_lshrrev_b32_e32 v128, 16, v124
	v_cvt_f32_f16_e32 v124, v125
	v_lshrrev_b32_e32 v125, 16, v125
	v_cvt_f32_f16_e32 v122, v126
	v_dual_lshrrev_b32 v126, 16, v126 :: v_dual_lshrrev_b32 v129, 16, v127
	v_cvt_f32_f16_e32 v113, v127
	v_cvt_f32_f16_e64 v128, v128
	v_cvt_f32_f16_e32 v127, v125
	s_delay_alu instid0(VALU_DEP_4)
	v_cvt_f32_f16_e32 v126, v126
	v_cvt_f32_f16_e64 v125, v129
.LBB25_32:
	s_or_b32 exec_lo, exec_lo, s1
	v_dual_add_f32 v129, v4, v9 :: v_dual_add_f32 v130, v6, v8
	v_dual_add_f32 v131, v3, v7 :: v_dual_add_f32 v132, v2, v5
	v_add_f32_e32 v133, v11, v16
	v_dual_add_f32 v141, v21, v24 :: v_dual_add_f32 v142, v18, v23
	s_delay_alu instid0(VALU_DEP_3) | instskip(SKIP_2) | instid1(VALU_DEP_3)
	v_dual_add_f32 v134, v130, v129 :: v_dual_add_f32 v136, v132, v131
	v_dual_add_f32 v135, v12, v15 :: v_dual_add_f32 v139, v1, v13
	;; [unrolled: 1-line block ×4, first 2 shown]
	v_sub_f32_e32 v134, v134, v136
	s_delay_alu instid0(VALU_DEP_4) | instskip(SKIP_2) | instid1(VALU_DEP_3)
	v_dual_add_f32 v136, v10, v14 :: v_dual_add_f32 v137, v135, v133
	v_add_f32_e32 v147, v17, v29
	v_dual_add_f32 v149, v141, v140 :: v_dual_add_f32 v150, v143, v142
	v_dual_add_f32 v148, v139, v136 :: v_dual_add_f32 v145, v28, v31
	;; [unrolled: 1-line block ×3, first 2 shown]
	s_delay_alu instid0(VALU_DEP_2) | instskip(NEXT) | instid1(VALU_DEP_4)
	v_dual_add_f32 v156, v34, v39 :: v_dual_add_f32 v153, v148, v137
	v_dual_sub_f32 v137, v137, v148 :: v_dual_add_f32 v148, v150, v149
	v_dual_add_f32 v155, v37, v40 :: v_dual_add_f32 v157, v36, v38
	v_dual_add_f32 v161, v33, v45 :: v_dual_add_f32 v158, v48, v43
	;; [unrolled: 1-line block ×3, first 2 shown]
	v_sub_f32_e32 v149, v149, v150
	v_dual_add_f32 v151, v145, v144 :: v_dual_add_f32 v152, v147, v146
	v_dual_add_f32 v150, v155, v154 :: v_dual_add_f32 v162, v157, v156
	s_delay_alu instid0(VALU_DEP_4) | instskip(NEXT) | instid1(VALU_DEP_3)
	v_dual_add_f32 v163, v159, v158 :: v_dual_add_f32 v164, v161, v160
	v_dual_add_f32 v165, v152, v151 :: v_dual_sub_f32 v151, v151, v152
	s_delay_alu instid0(VALU_DEP_3) | instskip(SKIP_1) | instid1(VALU_DEP_4)
	v_add_f32_e32 v152, v162, v150
	v_dual_sub_f32 v150, v150, v162 :: v_dual_add_f32 v166, v57, v51
	v_dual_add_f32 v162, v164, v163 :: v_dual_add_f32 v167, v53, v56
	v_dual_add_f32 v168, v50, v55 :: v_dual_add_f32 v169, v52, v54
	v_dual_sub_f32 v163, v163, v164 :: v_dual_add_f32 v164, v64, v59
	s_delay_alu instid0(VALU_DEP_3) | instskip(NEXT) | instid1(VALU_DEP_3)
	v_dual_add_f32 v171, v167, v166 :: v_dual_add_f32 v170, v60, v63
	v_dual_add_f32 v172, v169, v168 :: v_dual_add_f32 v173, v58, v62
	v_add_f32_e32 v174, v49, v61
	s_delay_alu instid0(VALU_DEP_3) | instskip(SKIP_1) | instid1(VALU_DEP_3)
	v_dual_add_f32 v176, v73, v67 :: v_dual_add_f32 v175, v170, v164
	v_dual_add_f32 v177, v69, v72 :: v_dual_add_f32 v178, v66, v71
	;; [unrolled: 1-line block ×3, first 2 shown]
	v_dual_add_f32 v181, v172, v171 :: v_dual_sub_f32 v171, v171, v172
	s_delay_alu instid0(VALU_DEP_2) | instskip(NEXT) | instid1(VALU_DEP_3)
	v_dual_add_f32 v172, v177, v176 :: v_dual_add_f32 v182, v179, v178
	v_dual_add_f32 v183, v180, v175 :: v_dual_sub_f32 v175, v175, v180
	v_add_f32_e32 v180, v80, v75
	s_delay_alu instid0(VALU_DEP_3) | instskip(SKIP_1) | instid1(VALU_DEP_2)
	v_dual_add_f32 v184, v76, v79 :: v_dual_add_f32 v185, v182, v172
	v_dual_sub_f32 v172, v172, v182 :: v_dual_add_f32 v186, v65, v77
	v_dual_add_f32 v182, v74, v78 :: v_dual_add_f32 v187, v184, v180
	v_dual_add_f32 v188, v89, v83 :: v_dual_add_f32 v189, v88, v85
	;; [unrolled: 1-line block ×5, first 2 shown]
	s_delay_alu instid0(VALU_DEP_4) | instskip(NEXT) | instid1(VALU_DEP_3)
	v_dual_add_f32 v196, v186, v182 :: v_dual_add_f32 v197, v189, v188
	v_dual_add_f32 v198, v191, v190 :: v_dual_add_f32 v199, v193, v192
	s_delay_alu instid0(VALU_DEP_2) | instskip(NEXT) | instid1(VALU_DEP_2)
	v_dual_add_f32 v200, v195, v194 :: v_dual_add_f32 v201, v196, v187
	v_dual_sub_f32 v187, v187, v196 :: v_dual_add_f32 v196, v198, v197
	s_delay_alu instid0(VALU_DEP_2)
	v_dual_sub_f32 v197, v197, v198 :: v_dual_add_f32 v198, v200, v199
	v_dual_sub_f32 v199, v199, v200 :: v_dual_add_f32 v202, v105, v99
	v_dual_add_f32 v203, v104, v101 :: v_dual_add_f32 v204, v98, v103
	v_add_f32_e32 v205, v100, v102
	v_dual_add_f32 v200, v112, v107 :: v_dual_add_f32 v206, v111, v108
	v_dual_add_f32 v209, v106, v110 :: v_dual_add_f32 v210, v97, v109
	s_delay_alu instid0(VALU_DEP_3) | instskip(NEXT) | instid1(VALU_DEP_3)
	v_dual_add_f32 v207, v203, v202 :: v_dual_add_f32 v208, v205, v204
	v_dual_add_f32 v211, v206, v200 :: v_dual_add_f32 v212, v121, v115
	;; [unrolled: 1-line block ×3, first 2 shown]
	s_delay_alu instid0(VALU_DEP_4) | instskip(NEXT) | instid1(VALU_DEP_4)
	v_dual_add_f32 v215, v116, v118 :: v_dual_add_f32 v216, v210, v209
	v_dual_add_f32 v217, v208, v207 :: v_dual_sub_f32 v207, v207, v208
	s_delay_alu instid0(VALU_DEP_2) | instskip(NEXT) | instid1(VALU_DEP_3)
	v_dual_add_f32 v208, v213, v212 :: v_dual_add_f32 v218, v215, v214
	v_dual_add_f32 v219, v216, v211 :: v_dual_sub_f32 v211, v211, v216
	v_dual_add_f32 v216, v128, v123 :: v_dual_add_f32 v220, v127, v124
	s_delay_alu instid0(VALU_DEP_3) | instskip(SKIP_1) | instid1(VALU_DEP_3)
	v_dual_add_f32 v221, v218, v208 :: v_dual_sub_f32 v208, v208, v218
	v_dual_add_f32 v218, v126, v122 :: v_dual_add_f32 v222, v113, v125
	v_dual_add_f32 v223, v220, v216 :: v_dual_sub_f32 v2, v2, v5
	v_dual_sub_f32 v6, v6, v8 :: v_dual_sub_f32 v4, v4, v9
	s_delay_alu instid0(VALU_DEP_3) | instskip(SKIP_1) | instid1(VALU_DEP_3)
	v_dual_sub_f32 v3, v3, v7 :: v_dual_add_f32 v5, v222, v218
	v_dual_sub_f32 v7, v12, v15 :: v_dual_sub_f32 v8, v11, v16
	v_dual_add_f32 v9, v4, v6 :: v_dual_sub_f32 v1, v1, v13
	s_delay_alu instid0(VALU_DEP_3) | instskip(SKIP_1) | instid1(VALU_DEP_2)
	v_dual_add_f32 v11, v3, v2 :: v_dual_add_f32 v12, v5, v223
	v_dual_sub_f32 v10, v10, v14 :: v_dual_sub_f32 v5, v223, v5
	v_dual_add_f32 v14, v8, v7 :: v_dual_add_f32 v13, v11, v9
	s_delay_alu instid0(VALU_DEP_2) | instskip(SKIP_2) | instid1(VALU_DEP_3)
	v_dual_sub_f32 v16, v21, v24 :: v_dual_add_f32 v15, v10, v1
	v_dual_sub_f32 v19, v19, v25 :: v_dual_sub_f32 v20, v20, v22
	v_sub_f32_e32 v18, v18, v23
	v_dual_sub_f32 v9, v9, v11 :: v_dual_add_f32 v11, v15, v14
	v_dual_sub_f32 v14, v14, v15 :: v_dual_sub_f32 v23, v27, v32
	s_delay_alu instid0(VALU_DEP_4) | instskip(NEXT) | instid1(VALU_DEP_4)
	v_add_f32_e32 v15, v19, v16
	v_dual_add_f32 v21, v18, v20 :: v_dual_sub_f32 v22, v28, v31
	v_dual_sub_f32 v17, v17, v29 :: v_dual_sub_f32 v24, v26, v30
	v_sub_f32_e32 v26, v37, v40
	s_delay_alu instid0(VALU_DEP_3) | instskip(NEXT) | instid1(VALU_DEP_4)
	v_dual_add_f32 v25, v21, v15 :: v_dual_sub_f32 v15, v15, v21
	v_add_f32_e32 v21, v23, v22
	v_dual_sub_f32 v27, v35, v41 :: v_dual_sub_f32 v28, v36, v38
	v_dual_sub_f32 v29, v34, v39 :: v_dual_add_f32 v30, v24, v17
	v_dual_sub_f32 v31, v44, v47 :: v_dual_sub_f32 v32, v43, v48
	s_delay_alu instid0(VALU_DEP_2) | instskip(SKIP_1) | instid1(VALU_DEP_4)
	v_dual_add_f32 v34, v27, v26 :: v_dual_add_f32 v35, v29, v28
	v_dual_sub_f32 v33, v33, v45 :: v_dual_sub_f32 v36, v42, v46
	v_dual_add_f32 v37, v30, v21 :: v_dual_sub_f32 v21, v21, v30
	s_delay_alu instid0(VALU_DEP_3) | instskip(NEXT) | instid1(VALU_DEP_3)
	v_dual_add_f32 v30, v35, v34 :: v_dual_add_f32 v38, v32, v31
	v_dual_add_f32 v39, v36, v33 :: v_dual_sub_f32 v40, v53, v56
	v_dual_sub_f32 v41, v51, v57 :: v_dual_sub_f32 v42, v52, v54
	v_sub_f32_e32 v43, v50, v55
	s_delay_alu instid0(VALU_DEP_3) | instskip(NEXT) | instid1(VALU_DEP_3)
	v_dual_sub_f32 v34, v34, v35 :: v_dual_add_f32 v35, v39, v38
	v_dual_sub_f32 v38, v38, v39 :: v_dual_add_f32 v39, v41, v40
	s_delay_alu instid0(VALU_DEP_3) | instskip(SKIP_1) | instid1(VALU_DEP_2)
	v_dual_add_f32 v44, v43, v42 :: v_dual_sub_f32 v45, v60, v63
	v_dual_sub_f32 v46, v59, v64 :: v_dual_sub_f32 v47, v49, v61
	v_dual_sub_f32 v48, v58, v62 :: v_dual_add_f32 v49, v44, v39
	s_delay_alu instid0(VALU_DEP_2) | instskip(SKIP_2) | instid1(VALU_DEP_4)
	v_dual_sub_f32 v39, v39, v44 :: v_dual_add_f32 v44, v46, v45
	v_dual_sub_f32 v50, v69, v72 :: v_dual_sub_f32 v51, v67, v73
	v_dual_sub_f32 v52, v68, v70 :: v_dual_sub_f32 v53, v66, v71
	v_dual_sub_f32 v56, v75, v80 :: v_dual_add_f32 v54, v48, v47
	s_delay_alu instid0(VALU_DEP_3) | instskip(NEXT) | instid1(VALU_DEP_3)
	v_dual_add_f32 v57, v51, v50 :: v_dual_sub_f32 v55, v76, v79
	v_add_f32_e32 v58, v53, v52
	v_dual_sub_f32 v59, v65, v77 :: v_dual_sub_f32 v60, v74, v78
	s_delay_alu instid0(VALU_DEP_4) | instskip(NEXT) | instid1(VALU_DEP_3)
	v_dual_add_f32 v61, v54, v44 :: v_dual_sub_f32 v44, v44, v54
	v_dual_add_f32 v54, v58, v57 :: v_dual_add_f32 v62, v56, v55
	s_delay_alu instid0(VALU_DEP_3) | instskip(SKIP_2) | instid1(VALU_DEP_3)
	v_dual_add_f32 v63, v60, v59 :: v_dual_sub_f32 v64, v85, v88
	v_dual_sub_f32 v65, v83, v89 :: v_dual_sub_f32 v66, v84, v86
	v_dual_sub_f32 v67, v82, v87 :: v_dual_sub_f32 v57, v57, v58
	v_dual_add_f32 v58, v63, v62 :: v_dual_sub_f32 v62, v62, v63
	s_delay_alu instid0(VALU_DEP_2) | instskip(SKIP_2) | instid1(VALU_DEP_3)
	v_dual_add_f32 v63, v65, v64 :: v_dual_add_f32 v68, v67, v66
	v_dual_sub_f32 v69, v92, v95 :: v_dual_sub_f32 v70, v91, v96
	v_dual_sub_f32 v71, v81, v93 :: v_dual_sub_f32 v72, v90, v94
	v_dual_add_f32 v73, v68, v63 :: v_dual_sub_f32 v63, v63, v68
	s_delay_alu instid0(VALU_DEP_3) | instskip(SKIP_4) | instid1(VALU_DEP_3)
	v_dual_add_f32 v68, v70, v69 :: v_dual_sub_f32 v74, v101, v104
	v_dual_sub_f32 v75, v99, v105 :: v_dual_sub_f32 v76, v100, v102
	v_dual_sub_f32 v77, v98, v103 :: v_dual_sub_f32 v79, v107, v112
	;; [unrolled: 1-line block ×3, first 2 shown]
	v_dual_sub_f32 v81, v106, v110 :: v_dual_add_f32 v82, v72, v71
	v_dual_add_f32 v83, v75, v74 :: v_dual_add_f32 v84, v77, v76
	s_delay_alu instid0(VALU_DEP_2) | instskip(NEXT) | instid1(VALU_DEP_3)
	v_dual_add_f32 v85, v79, v78 :: v_dual_add_f32 v86, v81, v80
	v_dual_add_f32 v87, v82, v68 :: v_dual_sub_f32 v68, v68, v82
	s_delay_alu instid0(VALU_DEP_3) | instskip(NEXT) | instid1(VALU_DEP_3)
	v_dual_add_f32 v82, v84, v83 :: v_dual_sub_f32 v83, v83, v84
	v_dual_add_f32 v84, v86, v85 :: v_dual_sub_f32 v88, v117, v120
	v_dual_sub_f32 v89, v115, v121 :: v_dual_sub_f32 v90, v116, v118
	v_dual_sub_f32 v91, v114, v119 :: v_dual_sub_f32 v93, v123, v128
	;; [unrolled: 1-line block ×3, first 2 shown]
	v_sub_f32_e32 v95, v122, v126
	v_dual_sub_f32 v85, v85, v86 :: v_dual_sub_f32 v99, v131, v132
	s_delay_alu instid0(VALU_DEP_4) | instskip(NEXT) | instid1(VALU_DEP_3)
	v_dual_add_f32 v86, v89, v88 :: v_dual_add_f32 v96, v91, v90
	v_dual_add_f32 v97, v93, v92 :: v_dual_add_f32 v98, v95, v94
	v_sub_f32_e32 v100, v129, v130
	s_delay_alu instid0(VALU_DEP_3) | instskip(SKIP_1) | instid1(VALU_DEP_4)
	v_dual_sub_f32 v102, v133, v135 :: v_dual_add_f32 v101, v96, v86
	v_sub_f32_e32 v86, v86, v96
	v_dual_add_f32 v96, v98, v97 :: v_dual_sub_f32 v97, v97, v98
	s_delay_alu instid0(VALU_DEP_4)
	v_dual_add_f32 v98, v100, v99 :: v_dual_sub_f32 v99, v100, v99
	v_dual_sub_f32 v103, v142, v143 :: v_dual_sub_f32 v104, v140, v141
	v_dual_sub_f32 v105, v146, v147 :: v_dual_sub_f32 v106, v144, v145
	v_sub_f32_e32 v100, v136, v139
	v_dual_sub_f32 v108, v154, v155 :: v_dual_sub_f32 v109, v160, v161
	v_dual_sub_f32 v110, v158, v159 :: v_dual_sub_f32 v111, v168, v169
	v_sub_f32_e32 v112, v166, v167
	s_delay_alu instid0(VALU_DEP_4)
	v_dual_add_f32 v107, v102, v100 :: v_dual_sub_f32 v100, v102, v100
	v_dual_add_f32 v102, v104, v103 :: v_dual_sub_f32 v103, v104, v103
	;; [unrolled: 1-line block ×3, first 2 shown]
	v_dual_sub_f32 v106, v156, v157 :: v_dual_sub_f32 v115, v178, v179
	v_dual_sub_f32 v116, v176, v177 :: v_dual_sub_f32 v117, v182, v186
	;; [unrolled: 1-line block ×3, first 2 shown]
	s_delay_alu instid0(VALU_DEP_3)
	v_dual_add_f32 v113, v108, v106 :: v_dual_sub_f32 v106, v108, v106
	v_dual_add_f32 v108, v110, v109 :: v_dual_sub_f32 v109, v110, v109
	;; [unrolled: 1-line block ×3, first 2 shown]
	v_sub_f32_e32 v112, v173, v174
	v_sub_f32_e32 v114, v164, v170
	v_dual_sub_f32 v120, v188, v189 :: v_dual_sub_f32 v124, v202, v203
	v_sub_f32_e32 v122, v192, v193
	s_delay_alu instid0(VALU_DEP_3)
	v_dual_sub_f32 v123, v204, v205 :: v_dual_add_f32 v119, v114, v112
	v_dual_sub_f32 v112, v114, v112 :: v_dual_add_f32 v114, v116, v115
	;; [unrolled: 1-line block ×3, first 2 shown]
	v_sub_f32_e32 v117, v118, v117
	v_dual_sub_f32 v118, v190, v191 :: v_dual_sub_f32 v126, v200, v206
	v_sub_f32_e32 v127, v214, v215
	v_dual_sub_f32 v129, v218, v222 :: v_dual_sub_f32 v130, v216, v220
	v_sub_f32_e32 v2, v3, v2
	s_delay_alu instid0(VALU_DEP_4) | instskip(SKIP_4) | instid1(VALU_DEP_2)
	v_dual_add_f32 v125, v120, v118 :: v_dual_sub_f32 v118, v120, v118
	v_dual_add_f32 v120, v122, v121 :: v_dual_sub_f32 v121, v122, v121
	;; [unrolled: 1-line block ×3, first 2 shown]
	v_dual_sub_f32 v124, v209, v210 :: v_dual_sub_f32 v128, v212, v213
	v_dual_sub_f32 v3, v4, v6 :: v_dual_sub_f32 v1, v10, v1
	v_dual_sub_f32 v4, v8, v7 :: v_dual_add_f32 v131, v126, v124
	s_delay_alu instid0(VALU_DEP_3)
	v_dual_sub_f32 v124, v126, v124 :: v_dual_add_f32 v126, v128, v127
	v_dual_sub_f32 v127, v128, v127 :: v_dual_add_f32 v128, v130, v129
	v_sub_f32_e32 v129, v130, v129
	v_dual_sub_f32 v6, v18, v20 :: v_dual_add_f32 v8, v3, v2
	v_dual_sub_f32 v7, v19, v16 :: v_dual_add_f32 v10, v4, v1
	v_dual_sub_f32 v3, v3, v2 :: v_dual_sub_f32 v4, v4, v1
	v_dual_sub_f32 v1, v24, v17 :: v_dual_sub_f32 v2, v23, v22
	s_delay_alu instid0(VALU_DEP_3) | instskip(SKIP_2) | instid1(VALU_DEP_4)
	v_dual_add_f32 v16, v7, v6 :: v_dual_sub_f32 v6, v7, v6
	v_dual_sub_f32 v7, v29, v28 :: v_dual_sub_f32 v17, v27, v26
	v_sub_f32_e32 v18, v36, v33
	v_dual_sub_f32 v19, v32, v31 :: v_dual_add_f32 v20, v2, v1
	s_delay_alu instid0(VALU_DEP_3) | instskip(NEXT) | instid1(VALU_DEP_2)
	v_dual_sub_f32 v22, v2, v1 :: v_dual_add_f32 v23, v17, v7
	v_dual_sub_f32 v7, v17, v7 :: v_dual_add_f32 v17, v19, v18
	v_sub_f32_e32 v18, v19, v18
	v_dual_sub_f32 v1, v43, v42 :: v_dual_sub_f32 v2, v41, v40
	v_dual_sub_f32 v19, v48, v47 :: v_dual_sub_f32 v24, v46, v45
	;; [unrolled: 1-line block ×3, first 2 shown]
	s_delay_alu instid0(VALU_DEP_3) | instskip(NEXT) | instid1(VALU_DEP_3)
	v_dual_add_f32 v28, v2, v1 :: v_dual_sub_f32 v29, v2, v1
	v_dual_add_f32 v31, v24, v19 :: v_dual_sub_f32 v19, v24, v19
	s_delay_alu instid0(VALU_DEP_3) | instskip(SKIP_3) | instid1(VALU_DEP_3)
	v_dual_add_f32 v24, v27, v26 :: v_dual_sub_f32 v1, v60, v59
	v_dual_sub_f32 v32, v56, v55 :: v_dual_sub_f32 v33, v67, v66
	v_dual_sub_f32 v36, v65, v64 :: v_dual_sub_f32 v26, v27, v26
	v_mbcnt_lo_u32_b32 v2, -1, 0
	v_dual_add_f32 v27, v32, v1 :: v_dual_sub_f32 v32, v32, v1
	s_delay_alu instid0(VALU_DEP_3) | instskip(SKIP_1) | instid1(VALU_DEP_4)
	v_add_f32_e32 v40, v36, v33
	v_dual_sub_f32 v41, v72, v71 :: v_dual_sub_f32 v42, v70, v69
	v_dual_sub_f32 v43, v77, v76 :: v_dual_bitop2_b32 v1, 1, v2 bitop3:0x14
	v_dual_sub_f32 v45, v75, v74 :: v_dual_sub_f32 v33, v36, v33
	v_sub_f32_e32 v46, v81, v80
	s_delay_alu instid0(VALU_DEP_3) | instskip(SKIP_1) | instid1(VALU_DEP_4)
	v_cmp_gt_i32_e64 s1, 32, v1
	v_dual_add_f32 v36, v42, v41 :: v_dual_sub_f32 v41, v42, v41
	v_dual_add_f32 v42, v45, v43 :: v_dual_sub_f32 v47, v79, v78
	s_delay_alu instid0(VALU_DEP_3) | instskip(SKIP_2) | instid1(VALU_DEP_3)
	v_dual_cndmask_b32 v1, v2, v1, s1 :: v_dual_sub_f32 v48, v91, v90
	v_and_b32_e32 v50, 1, v0
	v_sub_f32_e32 v53, v89, v88
	v_dual_sub_f32 v43, v45, v43 :: v_dual_lshlrev_b32 v1, 2, v1
	v_add_f32_e32 v45, v47, v46
	s_delay_alu instid0(VALU_DEP_4) | instskip(NEXT) | instid1(VALU_DEP_4)
	v_cmp_eq_u32_e64 s1, 0, v50
	v_dual_sub_f32 v46, v47, v46 :: v_dual_add_f32 v47, v53, v48
	v_sub_f32_e32 v50, v95, v94
	ds_bpermute_b32 v51, v1, v138
	ds_bpermute_b32 v52, v1, v13
	ds_bpermute_b32 v59, v1, v98
	ds_bpermute_b32 v60, v1, v8
	ds_bpermute_b32 v64, v1, v134
	ds_bpermute_b32 v65, v1, v9
	ds_bpermute_b32 v66, v1, v99
	v_dual_sub_f32 v55, v93, v92 :: v_dual_cndmask_b32 v56, -v138, v138, s1
	v_cndmask_b32_e64 v13, -v13, v13, s1
	v_sub_f32_e32 v48, v53, v48
	s_delay_alu instid0(VALU_DEP_3)
	v_dual_cndmask_b32 v8, -v8, v8, s1 :: v_dual_add_f32 v53, v55, v50
	v_sub_f32_e32 v50, v55, v50
	v_dual_cndmask_b32 v55, -v134, v134, s1 :: v_dual_cndmask_b32 v9, -v9, v9, s1
	ds_bpermute_b32 v67, v1, v3
	ds_bpermute_b32 v69, v1, v153
	;; [unrolled: 1-line block ×4, first 2 shown]
	s_wait_dscnt 0x9
	v_dual_add_f32 v51, v56, v51 :: v_dual_add_f32 v13, v13, v52
	v_dual_cndmask_b32 v52, -v98, v98, s1 :: v_dual_cndmask_b32 v56, -v99, v99, s1
	s_wait_dscnt 0x7
	v_add_f32_e32 v8, v8, v60
	ds_bpermute_b32 v72, v1, v10
	s_wait_dscnt 0x7
	v_dual_add_f32 v55, v55, v64 :: v_dual_add_f32 v52, v52, v59
	s_wait_dscnt 0x5
	v_dual_add_f32 v9, v9, v65 :: v_dual_add_f32 v56, v56, v66
	ds_bpermute_b32 v64, v1, v137
	ds_bpermute_b32 v65, v1, v14
	;; [unrolled: 1-line block ×5, first 2 shown]
	v_dual_cndmask_b32 v3, -v3, v3, s1 :: v_dual_cndmask_b32 v59, -v153, v153, s1
	v_dual_cndmask_b32 v11, -v11, v11, s1 :: v_dual_cndmask_b32 v10, -v10, v10, s1
	v_cndmask_b32_e64 v60, -v107, v107, s1
	ds_bpermute_b32 v76, v1, v16
	ds_bpermute_b32 v77, v1, v149
	;; [unrolled: 1-line block ×3, first 2 shown]
	s_wait_dscnt 0xc
	v_dual_add_f32 v3, v3, v67 :: v_dual_cndmask_b32 v67, -v137, v137, s1
	s_wait_dscnt 0x8
	v_dual_add_f32 v11, v11, v70 :: v_dual_add_f32 v10, v10, v72
	v_dual_add_f32 v59, v59, v69 :: v_dual_add_f32 v60, v60, v71
	v_dual_cndmask_b32 v14, -v14, v14, s1 :: v_dual_cndmask_b32 v4, -v4, v4, s1
	v_cndmask_b32_e64 v69, -v100, v100, s1
	v_cndmask_b32_e64 v70, -v148, v148, s1
	ds_bpermute_b32 v71, v1, v25
	ds_bpermute_b32 v72, v1, v102
	s_wait_dscnt 0x8
	v_dual_add_f32 v64, v67, v64 :: v_dual_add_f32 v14, v14, v65
	s_wait_dscnt 0x7
	v_add_f32_e32 v65, v69, v66
	s_wait_dscnt 0x5
	v_dual_add_f32 v4, v4, v74 :: v_dual_add_f32 v66, v70, v75
	ds_bpermute_b32 v70, v1, v103
	ds_bpermute_b32 v74, v1, v6
	;; [unrolled: 1-line block ×5, first 2 shown]
	v_dual_cndmask_b32 v16, -v16, v16, s1 :: v_dual_cndmask_b32 v69, -v149, v149, s1
	v_dual_cndmask_b32 v15, -v15, v15, s1 :: v_dual_cndmask_b32 v25, -v25, v25, s1
	s_wait_dscnt 0x9
	s_delay_alu instid0(VALU_DEP_2) | instskip(SKIP_1) | instid1(VALU_DEP_2)
	v_dual_cndmask_b32 v67, -v102, v102, s1 :: v_dual_add_f32 v16, v16, v76
	s_wait_dscnt 0x7
	v_dual_add_f32 v69, v69, v77 :: v_dual_add_f32 v15, v15, v78
	ds_bpermute_b32 v77, v1, v20
	ds_bpermute_b32 v78, v1, v151
	;; [unrolled: 1-line block ×4, first 2 shown]
	s_wait_dscnt 0x9
	v_dual_add_f32 v25, v25, v71 :: v_dual_add_f32 v67, v67, v72
	v_dual_cndmask_b32 v71, -v103, v103, s1 :: v_dual_cndmask_b32 v6, -v6, v6, s1
	v_dual_cndmask_b32 v72, -v165, v165, s1 :: v_dual_cndmask_b32 v76, -v104, v104, s1
	s_wait_dscnt 0x8
	s_delay_alu instid0(VALU_DEP_2)
	v_dual_cndmask_b32 v37, -v37, v37, s1 :: v_dual_add_f32 v70, v71, v70
	ds_bpermute_b32 v81, v1, v21
	s_wait_dscnt 0x7
	v_dual_add_f32 v6, v6, v74 :: v_dual_add_f32 v71, v72, v75
	s_wait_dscnt 0x5
	v_dual_add_f32 v37, v37, v79 :: v_dual_add_f32 v72, v76, v80
	ds_bpermute_b32 v76, v1, v152
	ds_bpermute_b32 v80, v1, v113
	;; [unrolled: 1-line block ×3, first 2 shown]
	v_dual_cndmask_b32 v20, -v20, v20, s1 :: v_dual_cndmask_b32 v74, -v151, v151, s1
	v_dual_cndmask_b32 v21, -v21, v21, s1 :: v_dual_cndmask_b32 v22, -v22, v22, s1
	v_cndmask_b32_e64 v75, -v105, v105, s1
	ds_bpermute_b32 v79, v1, v30
	ds_bpermute_b32 v90, v1, v23
	s_wait_dscnt 0x8
	v_dual_add_f32 v74, v74, v78 :: v_dual_add_f32 v20, v20, v77
	s_wait_dscnt 0x6
	v_dual_add_f32 v75, v75, v88 :: v_dual_add_f32 v22, v22, v89
	v_cndmask_b32_e64 v23, -v23, v23, s1
	ds_bpermute_b32 v88, v1, v34
	ds_bpermute_b32 v89, v1, v106
	;; [unrolled: 1-line block ×3, first 2 shown]
	s_wait_dscnt 0x8
	v_dual_add_f32 v21, v21, v81 :: v_dual_cndmask_b32 v77, -v152, v152, s1
	v_dual_cndmask_b32 v30, -v30, v30, s1 :: v_dual_cndmask_b32 v78, -v113, v113, s1
	v_cndmask_b32_e64 v81, -v150, v150, s1
	ds_bpermute_b32 v92, v1, v7
	ds_bpermute_b32 v94, v1, v35
	s_wait_dscnt 0x9
	v_add_f32_e32 v76, v77, v76
	s_wait_dscnt 0x7
	v_dual_add_f32 v77, v78, v80 :: v_dual_add_f32 v78, v81, v91
	ds_bpermute_b32 v81, v1, v108
	ds_bpermute_b32 v91, v1, v163
	;; [unrolled: 1-line block ×4, first 2 shown]
	s_wait_dscnt 0x9
	v_dual_add_f32 v30, v30, v79 :: v_dual_add_f32 v23, v23, v90
	v_dual_cndmask_b32 v34, -v34, v34, s1 :: v_dual_cndmask_b32 v7, -v7, v7, s1
	v_dual_cndmask_b32 v79, -v106, v106, s1 :: v_dual_cndmask_b32 v35, -v35, v35, s1
	v_cndmask_b32_e64 v80, -v162, v162, s1
	ds_bpermute_b32 v90, v1, v17
	ds_bpermute_b32 v100, v1, v110
	s_wait_dscnt 0x9
	v_dual_add_f32 v79, v79, v89 :: v_dual_add_f32 v34, v34, v88
	s_wait_dscnt 0x8
	v_add_f32_e32 v80, v80, v93
	ds_bpermute_b32 v93, v1, v18
	s_wait_dscnt 0x8
	v_dual_add_f32 v7, v7, v92 :: v_dual_cndmask_b32 v17, -v17, v17, s1
	s_wait_dscnt 0x7
	v_dual_add_f32 v35, v35, v94 :: v_dual_cndmask_b32 v88, -v108, v108, s1
	v_dual_cndmask_b32 v89, -v163, v163, s1 :: v_dual_cndmask_b32 v38, -v38, v38, s1
	v_cndmask_b32_e64 v92, -v109, v109, s1
	ds_bpermute_b32 v94, v1, v181
	ds_bpermute_b32 v99, v1, v49
	;; [unrolled: 1-line block ×3, first 2 shown]
	s_wait_dscnt 0x7
	v_dual_add_f32 v81, v88, v81 :: v_dual_add_f32 v38, v38, v95
	s_wait_dscnt 0x6
	v_dual_add_f32 v88, v89, v91 :: v_dual_add_f32 v89, v92, v98
	ds_bpermute_b32 v92, v1, v171
	ds_bpermute_b32 v98, v1, v111
	;; [unrolled: 1-line block ×4, first 2 shown]
	v_dual_cndmask_b32 v18, -v18, v18, s1 :: v_dual_cndmask_b32 v49, -v49, v49, s1
	v_cndmask_b32_e64 v91, -v110, v110, s1
	s_wait_dscnt 0x9
	v_add_f32_e32 v17, v17, v90
	v_dual_cndmask_b32 v90, -v181, v181, s1 :: v_dual_cndmask_b32 v28, -v28, v28, s1
	s_wait_dscnt 0x7
	v_add_f32_e32 v18, v18, v93
	ds_bpermute_b32 v95, v1, v39
	v_add_f32_e32 v91, v91, v100
	ds_bpermute_b32 v100, v1, v61
	s_wait_dscnt 0x7
	v_dual_add_f32 v90, v90, v94 :: v_dual_add_f32 v49, v49, v99
	s_wait_dscnt 0x6
	v_dual_add_f32 v28, v28, v102 :: v_dual_cndmask_b32 v93, -v171, v171, s1
	v_dual_cndmask_b32 v29, -v29, v29, s1 :: v_dual_cndmask_b32 v94, -v111, v111, s1
	v_dual_cndmask_b32 v61, -v61, v61, s1 :: v_dual_cndmask_b32 v99, -v183, v183, s1
	ds_bpermute_b32 v102, v1, v119
	ds_bpermute_b32 v105, v1, v31
	;; [unrolled: 1-line block ×4, first 2 shown]
	s_wait_dscnt 0x9
	v_dual_cndmask_b32 v39, -v39, v39, s1 :: v_dual_add_f32 v92, v93, v92
	s_wait_dscnt 0x7
	v_dual_add_f32 v93, v94, v98 :: v_dual_add_f32 v29, v29, v103
	s_wait_dscnt 0x6
	v_add_f32_e32 v94, v99, v104
	ds_bpermute_b32 v99, v1, v112
	ds_bpermute_b32 v103, v1, v19
	;; [unrolled: 1-line block ×5, first 2 shown]
	s_wait_dscnt 0xa
	v_dual_add_f32 v39, v39, v95 :: v_dual_cndmask_b32 v44, -v44, v44, s1
	s_wait_dscnt 0x9
	v_dual_cndmask_b32 v95, -v119, v119, s1 :: v_dual_add_f32 v61, v61, v100
	v_dual_cndmask_b32 v98, -v175, v175, s1 :: v_dual_cndmask_b32 v100, -v112, v112, s1
	v_cndmask_b32_e64 v31, -v31, v31, s1
	s_wait_dscnt 0x8
	s_delay_alu instid0(VALU_DEP_3)
	v_add_f32_e32 v95, v95, v102
	v_dual_cndmask_b32 v19, -v19, v19, s1 :: v_dual_cndmask_b32 v102, -v185, v185, s1
	s_wait_dscnt 0x6
	v_dual_add_f32 v98, v98, v106 :: v_dual_add_f32 v31, v31, v105
	s_wait_dscnt 0x5
	v_dual_cndmask_b32 v54, -v54, v54, s1 :: v_dual_add_f32 v44, v44, v107
	s_wait_dscnt 0x4
	v_dual_cndmask_b32 v105, -v114, v114, s1 :: v_dual_add_f32 v99, v100, v99
	ds_bpermute_b32 v106, v1, v24
	ds_bpermute_b32 v107, v1, v172
	ds_bpermute_b32 v110, v1, v57
	ds_bpermute_b32 v111, v1, v115
	ds_bpermute_b32 v112, v1, v26
	s_wait_dscnt 0x7
	v_dual_add_f32 v19, v19, v103 :: v_dual_add_f32 v100, v102, v104
	s_wait_dscnt 0x5
	v_dual_add_f32 v54, v54, v108 :: v_dual_add_f32 v102, v105, v109
	ds_bpermute_b32 v105, v1, v201
	ds_bpermute_b32 v108, v1, v58
	;; [unrolled: 1-line block ×5, first 2 shown]
	v_dual_cndmask_b32 v24, -v24, v24, s1 :: v_dual_cndmask_b32 v57, -v57, v57, s1
	v_dual_cndmask_b32 v103, -v172, v172, s1 :: v_dual_cndmask_b32 v104, -v115, v115, s1
	v_cndmask_b32_e64 v26, -v26, v26, s1
	v_dual_cndmask_b32 v58, -v58, v58, s1 :: v_dual_cndmask_b32 v27, -v27, v27, s1
	s_wait_dscnt 0x8
	s_delay_alu instid0(VALU_DEP_3)
	v_dual_add_f32 v103, v103, v107 :: v_dual_add_f32 v24, v24, v106
	s_wait_dscnt 0x6
	v_dual_add_f32 v57, v57, v110 :: v_dual_add_f32 v104, v104, v111
	s_wait_dscnt 0x5
	v_dual_add_f32 v26, v26, v112 :: v_dual_cndmask_b32 v106, -v201, v201, s1
	v_dual_cndmask_b32 v107, -v116, v116, s1 :: v_dual_cndmask_b32 v110, -v187, v187, s1
	ds_bpermute_b32 v111, v1, v62
	ds_bpermute_b32 v112, v1, v117
	;; [unrolled: 1-line block ×5, first 2 shown]
	s_wait_dscnt 0x9
	v_add_f32_e32 v105, v106, v105
	s_wait_dscnt 0x7
	v_dual_add_f32 v58, v58, v108 :: v_dual_add_f32 v106, v107, v109
	s_wait_dscnt 0x5
	v_dual_add_f32 v27, v27, v113 :: v_dual_add_f32 v107, v110, v114
	v_dual_cndmask_b32 v62, -v62, v62, s1 :: v_dual_cndmask_b32 v108, -v117, v117, s1
	ds_bpermute_b32 v110, v1, v125
	ds_bpermute_b32 v113, v1, v40
	;; [unrolled: 1-line block ×5, first 2 shown]
	v_dual_cndmask_b32 v32, -v32, v32, s1 :: v_dual_cndmask_b32 v73, -v73, v73, s1
	s_wait_dscnt 0x9
	v_dual_cndmask_b32 v109, -v196, v196, s1 :: v_dual_add_f32 v62, v62, v111
	s_wait_dscnt 0x8
	v_add_f32_e32 v108, v108, v112
	s_wait_dscnt 0x7
	v_dual_add_f32 v32, v32, v115 :: v_dual_cndmask_b32 v111, -v125, v125, s1
	v_cndmask_b32_e64 v40, -v40, v40, s1
	s_wait_dscnt 0x6
	v_add_f32_e32 v109, v109, v116
	s_wait_dscnt 0x5
	v_add_f32_e32 v73, v73, v119
	v_dual_cndmask_b32 v112, -v197, v197, s1 :: v_dual_cndmask_b32 v63, -v63, v63, s1
	v_cndmask_b32_e64 v115, -v118, v118, s1
	ds_bpermute_b32 v116, v1, v33
	ds_bpermute_b32 v118, v1, v198
	;; [unrolled: 1-line block ×5, first 2 shown]
	s_wait_dscnt 0x9
	v_dual_add_f32 v110, v111, v110 :: v_dual_cndmask_b32 v33, -v33, v33, s1
	s_wait_dscnt 0x8
	v_add_f32_e32 v40, v40, v113
	s_wait_dscnt 0x6
	v_dual_add_f32 v111, v112, v114 :: v_dual_add_f32 v63, v63, v117
	s_wait_dscnt 0x5
	v_dual_add_f32 v112, v115, v130 :: v_dual_cndmask_b32 v114, -v120, v120, s1
	ds_bpermute_b32 v115, v1, v199
	ds_bpermute_b32 v117, v1, v68
	ds_bpermute_b32 v120, v1, v121
	ds_bpermute_b32 v130, v1, v41
	ds_bpermute_b32 v133, v1, v217
	v_dual_cndmask_b32 v113, -v198, v198, s1 :: v_dual_cndmask_b32 v87, -v87, v87, s1
	v_cndmask_b32_e64 v36, -v36, v36, s1
	s_wait_dscnt 0x9
	v_dual_add_f32 v33, v33, v116 :: v_dual_cndmask_b32 v116, -v199, v199, s1
	s_wait_dscnt 0x8
	v_dual_cndmask_b32 v68, -v68, v68, s1 :: v_dual_add_f32 v113, v113, v118
	s_wait_dscnt 0x6
	v_dual_add_f32 v87, v87, v119 :: v_dual_add_f32 v114, v114, v125
	s_wait_dscnt 0x5
	v_dual_add_f32 v36, v36, v132 :: v_dual_cndmask_b32 v118, -v121, v121, s1
	v_cndmask_b32_e64 v41, -v41, v41, s1
	v_cndmask_b32_e64 v119, -v217, v217, s1
	ds_bpermute_b32 v121, v1, v82
	ds_bpermute_b32 v125, v1, v122
	ds_bpermute_b32 v132, v1, v42
	ds_bpermute_b32 v134, v1, v207
	ds_bpermute_b32 v135, v1, v83
	s_wait_dscnt 0x7
	v_dual_add_f32 v115, v116, v115 :: v_dual_add_f32 v116, v118, v120
	s_wait_dscnt 0x6
	v_dual_add_f32 v68, v68, v117 :: v_dual_add_f32 v41, v41, v130
	s_wait_dscnt 0x5
	v_dual_cndmask_b32 v82, -v82, v82, s1 :: v_dual_add_f32 v117, v119, v133
	v_cndmask_b32_e64 v118, -v122, v122, s1
	ds_bpermute_b32 v120, v1, v123
	ds_bpermute_b32 v122, v1, v43
	;; [unrolled: 1-line block ×5, first 2 shown]
	v_dual_cndmask_b32 v42, -v42, v42, s1 :: v_dual_cndmask_b32 v119, -v207, v207, s1
	s_wait_dscnt 0x9
	v_dual_cndmask_b32 v83, -v83, v83, s1 :: v_dual_add_f32 v82, v82, v121
	s_wait_dscnt 0x8
	v_add_f32_e32 v118, v118, v125
	s_wait_dscnt 0x6
	v_dual_add_f32 v42, v42, v132 :: v_dual_add_f32 v119, v119, v134
	s_wait_dscnt 0x5
	v_add_f32_e32 v83, v83, v135
	v_dual_cndmask_b32 v121, -v123, v123, s1 :: v_dual_cndmask_b32 v84, -v84, v84, s1
	v_cndmask_b32_e64 v43, -v43, v43, s1
	v_cndmask_b32_e64 v123, -v219, v219, s1
	;; [unrolled: 1-line block ×3, first 2 shown]
	ds_bpermute_b32 v131, v1, v45
	ds_bpermute_b32 v132, v1, v211
	;; [unrolled: 1-line block ×5, first 2 shown]
	s_wait_dscnt 0x6
	v_dual_add_f32 v120, v121, v120 :: v_dual_add_f32 v84, v84, v133
	v_dual_add_f32 v121, v123, v130 :: v_dual_cndmask_b32 v85, -v85, v85, s1
	v_dual_cndmask_b32 v45, -v45, v45, s1 :: v_dual_add_f32 v43, v43, v122
	s_wait_dscnt 0x5
	v_add_f32_e32 v123, v125, v136
	ds_bpermute_b32 v125, v1, v221
	ds_bpermute_b32 v130, v1, v101
	;; [unrolled: 1-line block ×4, first 2 shown]
	v_dual_cndmask_b32 v122, -v211, v211, s1 :: v_dual_cndmask_b32 v124, -v124, v124, s1
	ds_bpermute_b32 v136, v1, v47
	s_wait_dscnt 0x9
	v_dual_cndmask_b32 v46, -v46, v46, s1 :: v_dual_add_f32 v45, v45, v131
	s_wait_dscnt 0x7
	v_dual_add_f32 v131, v122, v132 :: v_dual_add_f32 v85, v85, v134
	s_wait_dscnt 0x5
	s_delay_alu instid0(VALU_DEP_2)
	v_dual_add_f32 v124, v124, v135 :: v_dual_add_f32 v46, v46, v137
	v_dual_cndmask_b32 v122, -v221, v221, s1 :: v_dual_cndmask_b32 v126, -v126, v126, s1
	ds_bpermute_b32 v132, v1, v86
	v_dual_cndmask_b32 v101, -v101, v101, s1 :: v_dual_cndmask_b32 v47, -v47, v47, s1
	ds_bpermute_b32 v134, v1, v127
	ds_bpermute_b32 v135, v1, v48
	;; [unrolled: 1-line block ×3, first 2 shown]
	s_wait_dscnt 0x8
	v_dual_cndmask_b32 v139, -v208, v208, s1 :: v_dual_add_f32 v125, v122, v125
	s_wait_dscnt 0x6
	v_dual_add_f32 v101, v101, v130 :: v_dual_add_f32 v126, v126, v133
	v_cndmask_b32_e64 v122, -v127, v127, s1
	ds_bpermute_b32 v127, v1, v96
	ds_bpermute_b32 v133, v1, v128
	s_wait_dscnt 0x7
	v_dual_add_f32 v130, v139, v138 :: v_dual_cndmask_b32 v48, -v48, v48, s1
	s_wait_dscnt 0x6
	v_dual_add_f32 v47, v47, v136 :: v_dual_bitop2_b32 v138, 2, v2 bitop3:0x14
	v_cndmask_b32_e64 v86, -v86, v86, s1
	ds_bpermute_b32 v136, v1, v53
	v_cndmask_b32_e64 v12, -v12, v12, s1
	v_cmp_gt_i32_e64 s16, 32, v138
	v_dual_cndmask_b32 v96, -v96, v96, s1 :: v_dual_cndmask_b32 v53, -v53, v53, s1
	s_wait_dscnt 0x4
	v_dual_add_f32 v86, v86, v132 :: v_dual_add_f32 v48, v48, v135
	v_add_f32_e32 v132, v122, v134
	s_wait_dscnt 0x3
	v_dual_cndmask_b32 v122, v2, v138, s16 :: v_dual_add_f32 v12, v12, v137
	v_cndmask_b32_e64 v128, -v128, v128, s1
	ds_bpermute_b32 v134, v1, v5
	ds_bpermute_b32 v135, v1, v97
	v_lshlrev_b32_e32 v122, 2, v122
	ds_bpermute_b32 v137, v1, v129
	ds_bpermute_b32 v138, v1, v50
	s_wait_dscnt 0x6
	v_add_f32_e32 v96, v96, v127
	s_wait_dscnt 0x5
	v_dual_add_f32 v127, v128, v133 :: v_dual_bitop2_b32 v128, 2, v0 bitop3:0x40
	ds_bpermute_b32 v139, v122, v51
	s_wait_dscnt 0x5
	v_add_f32_e32 v53, v53, v136
	v_dual_cndmask_b32 v5, -v5, v5, s1 :: v_dual_cndmask_b32 v50, -v50, v50, s1
	v_cmp_eq_u32_e64 s16, 0, v128
	ds_bpermute_b32 v128, v122, v13
	v_cndmask_b32_e64 v97, -v97, v97, s1
	ds_bpermute_b32 v133, v122, v52
	ds_bpermute_b32 v136, v122, v8
	;; [unrolled: 1-line block ×4, first 2 shown]
	v_dual_cndmask_b32 v129, -v129, v129, s1 :: v_dual_cndmask_b32 v51, -v51, v51, s16
	s_wait_dscnt 0x9
	v_add_f32_e32 v5, v5, v134
	s_wait_dscnt 0x8
	v_dual_add_f32 v97, v97, v135 :: v_dual_cndmask_b32 v52, -v52, v52, s16
	ds_bpermute_b32 v134, v122, v56
	ds_bpermute_b32 v135, v122, v3
	s_wait_dscnt 0x8
	v_dual_add_f32 v50, v50, v138 :: v_dual_add_f32 v129, v129, v137
	v_dual_cndmask_b32 v8, -v8, v8, s16 :: v_dual_cndmask_b32 v13, -v13, v13, s16
	v_cndmask_b32_e64 v55, -v55, v55, s16
	ds_bpermute_b32 v137, v122, v59
	s_wait_dscnt 0x8
	v_dual_add_f32 v51, v51, v139 :: v_dual_cndmask_b32 v9, -v9, v9, s16
	ds_bpermute_b32 v138, v122, v11
	ds_bpermute_b32 v139, v122, v60
	s_wait_dscnt 0x8
	v_dual_add_f32 v13, v13, v128 :: v_dual_add_f32 v52, v52, v133
	ds_bpermute_b32 v128, v122, v10
	s_wait_dscnt 0x8
	v_add_f32_e32 v8, v8, v136
	s_wait_dscnt 0x6
	v_dual_add_f32 v55, v55, v140 :: v_dual_add_f32 v9, v9, v141
	v_dual_cndmask_b32 v56, -v56, v56, s16 :: v_dual_cndmask_b32 v3, -v3, v3, s16
	ds_bpermute_b32 v133, v122, v64
	ds_bpermute_b32 v136, v122, v14
	;; [unrolled: 1-line block ×4, first 2 shown]
	v_dual_cndmask_b32 v59, -v59, v59, s16 :: v_dual_cndmask_b32 v60, -v60, v60, s16
	s_wait_dscnt 0x9
	v_dual_cndmask_b32 v11, -v11, v11, s16 :: v_dual_add_f32 v56, v56, v134
	s_wait_dscnt 0x8
	v_dual_add_f32 v3, v3, v135 :: v_dual_cndmask_b32 v10, -v10, v10, s16
	ds_bpermute_b32 v134, v122, v66
	ds_bpermute_b32 v135, v122, v25
	s_wait_dscnt 0x7
	v_dual_add_f32 v59, v59, v137 :: v_dual_add_f32 v60, v60, v139
	ds_bpermute_b32 v137, v122, v67
	v_dual_add_f32 v11, v11, v138 :: v_dual_cndmask_b32 v64, -v64, v64, s16
	v_dual_cndmask_b32 v14, -v14, v14, s16 :: v_dual_cndmask_b32 v65, -v65, v65, s16
	v_dual_cndmask_b32 v4, -v4, v4, s16 :: v_dual_cndmask_b32 v66, -v66, v66, s16
	ds_bpermute_b32 v138, v122, v16
	ds_bpermute_b32 v139, v122, v69
	s_wait_dscnt 0x8
	v_dual_add_f32 v10, v10, v128 :: v_dual_add_f32 v64, v64, v133
	ds_bpermute_b32 v128, v122, v15
	s_wait_dscnt 0x6
	v_dual_add_f32 v14, v14, v136 :: v_dual_add_f32 v4, v4, v141
	v_dual_add_f32 v65, v65, v140 :: v_dual_cndmask_b32 v67, -v67, v67, s16
	v_dual_cndmask_b32 v25, -v25, v25, s16 :: v_dual_cndmask_b32 v16, -v16, v16, s16
	ds_bpermute_b32 v133, v122, v70
	ds_bpermute_b32 v136, v122, v6
	ds_bpermute_b32 v140, v122, v71
	ds_bpermute_b32 v141, v122, v37
	s_wait_dscnt 0x9
	v_dual_cndmask_b32 v69, -v69, v69, s16 :: v_dual_add_f32 v66, v66, v134
	s_wait_dscnt 0x7
	v_dual_add_f32 v25, v25, v135 :: v_dual_add_f32 v67, v67, v137
	ds_bpermute_b32 v134, v122, v72
	ds_bpermute_b32 v135, v122, v20
	v_dual_cndmask_b32 v15, -v15, v15, s16 :: v_dual_cndmask_b32 v70, -v70, v70, s16
	ds_bpermute_b32 v137, v122, v74
	s_wait_dscnt 0x8
	v_dual_add_f32 v16, v16, v138 :: v_dual_add_f32 v69, v69, v139
	v_dual_cndmask_b32 v6, -v6, v6, s16 :: v_dual_cndmask_b32 v71, -v71, v71, s16
	s_wait_dscnt 0x7
	v_dual_cndmask_b32 v37, -v37, v37, s16 :: v_dual_add_f32 v15, v15, v128
	ds_bpermute_b32 v138, v122, v21
	ds_bpermute_b32 v139, v122, v75
	ds_bpermute_b32 v128, v122, v22
	s_wait_dscnt 0x7
	v_dual_add_f32 v70, v70, v133 :: v_dual_add_f32 v71, v71, v140
	s_wait_dscnt 0x6
	v_dual_add_f32 v6, v6, v136 :: v_dual_add_f32 v37, v37, v141
	v_dual_cndmask_b32 v72, -v72, v72, s16 :: v_dual_cndmask_b32 v74, -v74, v74, s16
	v_dual_cndmask_b32 v20, -v20, v20, s16 :: v_dual_cndmask_b32 v21, -v21, v21, s16
	ds_bpermute_b32 v133, v122, v76
	ds_bpermute_b32 v136, v122, v30
	ds_bpermute_b32 v140, v122, v77
	ds_bpermute_b32 v141, v122, v23
	s_wait_dscnt 0x9
	v_dual_cndmask_b32 v75, -v75, v75, s16 :: v_dual_add_f32 v72, v72, v134
	s_wait_dscnt 0x7
	v_dual_add_f32 v20, v20, v135 :: v_dual_add_f32 v74, v74, v137
	ds_bpermute_b32 v134, v122, v78
	ds_bpermute_b32 v135, v122, v34
	v_dual_cndmask_b32 v22, -v22, v22, s16 :: v_dual_cndmask_b32 v76, -v76, v76, s16
	ds_bpermute_b32 v137, v122, v79
	s_wait_dscnt 0x8
	v_dual_add_f32 v21, v21, v138 :: v_dual_add_f32 v75, v75, v139
	v_dual_cndmask_b32 v30, -v30, v30, s16 :: v_dual_cndmask_b32 v77, -v77, v77, s16
	s_wait_dscnt 0x7
	v_dual_cndmask_b32 v23, -v23, v23, s16 :: v_dual_add_f32 v22, v22, v128
	ds_bpermute_b32 v138, v122, v7
	ds_bpermute_b32 v139, v122, v80
	ds_bpermute_b32 v128, v122, v35
	s_wait_dscnt 0x8
	v_dual_add_f32 v76, v76, v133 :: v_dual_add_f32 v30, v30, v136
	s_wait_dscnt 0x6
	v_dual_add_f32 v77, v77, v140 :: v_dual_add_f32 v23, v23, v141
	v_dual_cndmask_b32 v78, -v78, v78, s16 :: v_dual_cndmask_b32 v79, -v79, v79, s16
	;; [unrolled: 26-line block ×3, first 2 shown]
	ds_bpermute_b32 v133, v122, v92
	ds_bpermute_b32 v136, v122, v39
	;; [unrolled: 1-line block ×4, first 2 shown]
	v_dual_cndmask_b32 v90, -v90, v90, s16 :: v_dual_cndmask_b32 v49, -v49, v49, s16
	s_wait_dscnt 0x9
	v_dual_cndmask_b32 v91, -v91, v91, s16 :: v_dual_add_f32 v89, v89, v134
	s_wait_dscnt 0x8
	v_add_f32_e32 v18, v18, v135
	ds_bpermute_b32 v134, v122, v94
	ds_bpermute_b32 v135, v122, v61
	s_wait_dscnt 0x7
	v_dual_add_f32 v90, v90, v137 :: v_dual_add_f32 v91, v91, v139
	v_dual_cndmask_b32 v28, -v28, v28, s16 :: v_dual_cndmask_b32 v39, -v39, v39, s16
	ds_bpermute_b32 v137, v122, v95
	v_dual_add_f32 v49, v49, v138 :: v_dual_cndmask_b32 v92, -v92, v92, s16
	v_cndmask_b32_e64 v93, -v93, v93, s16
	s_wait_dscnt 0x7
	v_dual_cndmask_b32 v29, -v29, v29, s16 :: v_dual_add_f32 v28, v28, v128
	ds_bpermute_b32 v138, v122, v31
	ds_bpermute_b32 v139, v122, v98
	;; [unrolled: 1-line block ×3, first 2 shown]
	s_wait_dscnt 0x8
	v_dual_add_f32 v92, v92, v133 :: v_dual_add_f32 v39, v39, v136
	s_wait_dscnt 0x7
	v_dual_add_f32 v93, v93, v140 :: v_dual_cndmask_b32 v94, -v94, v94, s16
	s_wait_dscnt 0x6
	v_dual_add_f32 v29, v29, v141 :: v_dual_cndmask_b32 v95, -v95, v95, s16
	v_dual_cndmask_b32 v61, -v61, v61, s16 :: v_dual_cndmask_b32 v31, -v31, v31, s16
	ds_bpermute_b32 v133, v122, v99
	ds_bpermute_b32 v136, v122, v19
	;; [unrolled: 1-line block ×4, first 2 shown]
	s_wait_dscnt 0x8
	v_dual_cndmask_b32 v98, -v98, v98, s16 :: v_dual_add_f32 v61, v61, v135
	s_wait_dscnt 0x7
	v_dual_add_f32 v94, v94, v134 :: v_dual_add_f32 v95, v95, v137
	ds_bpermute_b32 v134, v122, v102
	ds_bpermute_b32 v135, v122, v24
	v_dual_cndmask_b32 v44, -v44, v44, s16 :: v_dual_cndmask_b32 v99, -v99, v99, s16
	ds_bpermute_b32 v137, v122, v103
	s_wait_dscnt 0x8
	v_dual_add_f32 v31, v31, v138 :: v_dual_add_f32 v98, v98, v139
	v_dual_cndmask_b32 v19, -v19, v19, s16 :: v_dual_cndmask_b32 v100, -v100, v100, s16
	s_wait_dscnt 0x7
	v_dual_cndmask_b32 v54, -v54, v54, s16 :: v_dual_add_f32 v44, v44, v128
	ds_bpermute_b32 v138, v122, v57
	ds_bpermute_b32 v139, v122, v104
	;; [unrolled: 1-line block ×3, first 2 shown]
	s_wait_dscnt 0x7
	v_dual_add_f32 v99, v99, v133 :: v_dual_add_f32 v100, v100, v140
	s_wait_dscnt 0x6
	v_dual_add_f32 v19, v19, v136 :: v_dual_add_f32 v54, v54, v141
	v_dual_cndmask_b32 v102, -v102, v102, s16 :: v_dual_cndmask_b32 v24, -v24, v24, s16
	ds_bpermute_b32 v133, v122, v105
	ds_bpermute_b32 v136, v122, v58
	;; [unrolled: 1-line block ×4, first 2 shown]
	v_dual_cndmask_b32 v103, -v103, v103, s16 :: v_dual_cndmask_b32 v57, -v57, v57, s16
	s_wait_dscnt 0x9
	v_dual_cndmask_b32 v104, -v104, v104, s16 :: v_dual_add_f32 v102, v102, v134
	s_wait_dscnt 0x7
	s_delay_alu instid0(VALU_DEP_2)
	v_dual_add_f32 v24, v24, v135 :: v_dual_add_f32 v103, v103, v137
	ds_bpermute_b32 v134, v122, v107
	ds_bpermute_b32 v135, v122, v62
	v_dual_cndmask_b32 v26, -v26, v26, s16 :: v_dual_cndmask_b32 v105, -v105, v105, s16
	ds_bpermute_b32 v137, v122, v108
	s_wait_dscnt 0x8
	v_dual_add_f32 v57, v57, v138 :: v_dual_add_f32 v104, v104, v139
	v_dual_cndmask_b32 v58, -v58, v58, s16 :: v_dual_cndmask_b32 v27, -v27, v27, s16
	s_wait_dscnt 0x6
	v_dual_cndmask_b32 v106, -v106, v106, s16 :: v_dual_add_f32 v105, v105, v133
	ds_bpermute_b32 v138, v122, v32
	ds_bpermute_b32 v139, v122, v109
	s_wait_dscnt 0x5
	v_dual_add_f32 v26, v26, v128 :: v_dual_add_f32 v27, v27, v141
	ds_bpermute_b32 v128, v122, v73
	v_dual_add_f32 v58, v58, v136 :: v_dual_cndmask_b32 v107, -v107, v107, s16
	v_dual_add_f32 v106, v106, v140 :: v_dual_cndmask_b32 v109, -v109, v109, s16
	v_dual_cndmask_b32 v62, -v62, v62, s16 :: v_dual_cndmask_b32 v108, -v108, v108, s16
	ds_bpermute_b32 v133, v122, v110
	ds_bpermute_b32 v136, v122, v40
	;; [unrolled: 1-line block ×4, first 2 shown]
	s_wait_dscnt 0x9
	v_dual_cndmask_b32 v32, -v32, v32, s16 :: v_dual_add_f32 v107, v107, v134
	s_wait_dscnt 0x7
	v_dual_add_f32 v62, v62, v135 :: v_dual_add_f32 v108, v108, v137
	ds_bpermute_b32 v134, v122, v112
	ds_bpermute_b32 v135, v122, v33
	v_dual_cndmask_b32 v73, -v73, v73, s16 :: v_dual_cndmask_b32 v110, -v110, v110, s16
	ds_bpermute_b32 v137, v122, v113
	s_wait_dscnt 0x8
	v_dual_add_f32 v32, v32, v138 :: v_dual_add_f32 v109, v109, v139
	v_dual_cndmask_b32 v40, -v40, v40, s16 :: v_dual_cndmask_b32 v111, -v111, v111, s16
	s_wait_dscnt 0x7
	v_dual_cndmask_b32 v63, -v63, v63, s16 :: v_dual_add_f32 v73, v73, v128
	ds_bpermute_b32 v138, v122, v87
	ds_bpermute_b32 v139, v122, v114
	;; [unrolled: 1-line block ×3, first 2 shown]
	s_wait_dscnt 0x8
	v_dual_add_f32 v110, v110, v133 :: v_dual_add_f32 v40, v40, v136
	s_wait_dscnt 0x7
	v_dual_add_f32 v111, v111, v140 :: v_dual_cndmask_b32 v33, -v33, v33, s16
	s_wait_dscnt 0x6
	v_dual_add_f32 v63, v63, v141 :: v_dual_cndmask_b32 v112, -v112, v112, s16
	ds_bpermute_b32 v133, v122, v115
	ds_bpermute_b32 v136, v122, v68
	;; [unrolled: 1-line block ×3, first 2 shown]
	v_dual_cndmask_b32 v113, -v113, v113, s16 :: v_dual_cndmask_b32 v87, -v87, v87, s16
	s_wait_dscnt 0x7
	v_dual_cndmask_b32 v114, -v114, v114, s16 :: v_dual_add_f32 v33, v33, v135
	ds_bpermute_b32 v141, v122, v41
	s_wait_dscnt 0x7
	v_dual_add_f32 v112, v112, v134 :: v_dual_add_f32 v113, v113, v137
	ds_bpermute_b32 v134, v122, v117
	ds_bpermute_b32 v135, v122, v82
	v_dual_cndmask_b32 v36, -v36, v36, s16 :: v_dual_cndmask_b32 v115, -v115, v115, s16
	ds_bpermute_b32 v137, v122, v118
	s_wait_dscnt 0x8
	v_dual_add_f32 v87, v87, v138 :: v_dual_add_f32 v114, v114, v139
	v_dual_cndmask_b32 v68, -v68, v68, s16 :: v_dual_cndmask_b32 v41, -v41, v41, s16
	s_wait_dscnt 0x6
	v_dual_cndmask_b32 v116, -v116, v116, s16 :: v_dual_add_f32 v115, v115, v133
	ds_bpermute_b32 v138, v122, v42
	ds_bpermute_b32 v139, v122, v119
	v_add_f32_e32 v36, v36, v128
	ds_bpermute_b32 v128, v122, v83
	s_wait_dscnt 0x8
	v_dual_add_f32 v68, v68, v136 :: v_dual_cndmask_b32 v117, -v117, v117, s16
	s_wait_dscnt 0x7
	v_dual_add_f32 v116, v116, v140 :: v_dual_cndmask_b32 v82, -v82, v82, s16
	ds_bpermute_b32 v133, v122, v120
	ds_bpermute_b32 v140, v122, v121
	s_wait_dscnt 0x8
	v_dual_add_f32 v41, v41, v141 :: v_dual_cndmask_b32 v118, -v118, v118, s16
	v_cndmask_b32_e64 v119, -v119, v119, s16
	ds_bpermute_b32 v136, v122, v43
	ds_bpermute_b32 v141, v122, v84
	s_wait_dscnt 0x8
	v_dual_add_f32 v117, v117, v134 :: v_dual_add_f32 v82, v82, v135
	ds_bpermute_b32 v134, v122, v123
	ds_bpermute_b32 v135, v122, v45
	v_cndmask_b32_e64 v42, -v42, v42, s16
	s_wait_dscnt 0x9
	v_dual_add_f32 v118, v118, v137 :: v_dual_cndmask_b32 v83, -v83, v83, s16
	s_wait_dscnt 0x7
	v_dual_add_f32 v119, v119, v139 :: v_dual_cndmask_b32 v120, -v120, v120, s16
	v_dual_add_f32 v42, v42, v138 :: v_dual_cndmask_b32 v43, -v43, v43, s16
	v_cndmask_b32_e64 v121, -v121, v121, s16
	ds_bpermute_b32 v138, v122, v85
	s_wait_dscnt 0x6
	v_dual_add_f32 v83, v83, v128 :: v_dual_add_f32 v120, v120, v133
	ds_bpermute_b32 v128, v122, v124
	ds_bpermute_b32 v137, v122, v131
	v_dual_cndmask_b32 v84, -v84, v84, s16 :: v_dual_cndmask_b32 v123, -v123, v123, s16
	s_wait_dscnt 0x7
	v_dual_add_f32 v121, v121, v140 :: v_dual_cndmask_b32 v131, -v131, v131, s16
	v_cndmask_b32_e64 v45, -v45, v45, s16
	ds_bpermute_b32 v133, v122, v46
	ds_bpermute_b32 v139, v122, v101
	;; [unrolled: 1-line block ×3, first 2 shown]
	s_wait_dscnt 0x8
	v_dual_add_f32 v43, v43, v136 :: v_dual_add_f32 v84, v84, v141
	ds_bpermute_b32 v136, v122, v125
	s_wait_dscnt 0x8
	v_dual_cndmask_b32 v85, -v85, v85, s16 :: v_dual_add_f32 v134, v123, v134
	s_wait_dscnt 0x7
	v_dual_add_f32 v45, v45, v135 :: v_dual_cndmask_b32 v123, -v124, v124, s16
	ds_bpermute_b32 v124, v122, v47
	ds_bpermute_b32 v135, v122, v130
	;; [unrolled: 1-line block ×3, first 2 shown]
	s_wait_dscnt 0x8
	v_dual_add_f32 v85, v85, v138 :: v_dual_add_f32 v128, v123, v128
	v_dual_cndmask_b32 v46, -v46, v46, s16 :: v_dual_cndmask_b32 v125, -v125, v125, s16
	ds_bpermute_b32 v138, v122, v132
	v_dual_cndmask_b32 v101, -v101, v101, s16 :: v_dual_cndmask_b32 v123, -v126, v126, s16
	ds_bpermute_b32 v126, v122, v12
	s_wait_dscnt 0x9
	v_add_f32_e32 v131, v131, v137
	ds_bpermute_b32 v137, v122, v86
	s_wait_dscnt 0x8
	v_dual_add_f32 v46, v46, v133 :: v_dual_add_f32 v101, v101, v139
	s_wait_dscnt 0x7
	v_add_f32_e32 v133, v123, v140
	v_dual_cndmask_b32 v47, -v47, v47, s16 :: v_dual_cndmask_b32 v130, -v130, v130, s16
	ds_bpermute_b32 v123, v122, v96
	v_cndmask_b32_e64 v48, -v48, v48, s16
	s_wait_dscnt 0x7
	v_dual_add_f32 v125, v125, v136 :: v_dual_cndmask_b32 v86, -v86, v86, s16
	v_cndmask_b32_e64 v132, -v132, v132, s16
	s_wait_dscnt 0x5
	v_dual_add_f32 v47, v47, v124 :: v_dual_add_f32 v124, v130, v135
	s_wait_dscnt 0x4
	v_dual_add_f32 v48, v48, v141 :: v_dual_bitop2_b32 v136, 4, v2 bitop3:0x14
	v_cndmask_b32_e64 v12, -v12, v12, s16
	ds_bpermute_b32 v135, v122, v53
	v_dual_cndmask_b32 v96, -v96, v96, s16 :: v_dual_cndmask_b32 v53, -v53, v53, s16
	v_cmp_gt_i32_e64 s17, 32, v136
	s_wait_dscnt 0x4
	v_add_f32_e32 v130, v132, v138
	ds_bpermute_b32 v132, v122, v127
	ds_bpermute_b32 v138, v122, v97
	s_wait_dscnt 0x5
	v_dual_cndmask_b32 v127, -v127, v127, s16 :: v_dual_add_f32 v12, v12, v126
	v_cndmask_b32_e64 v126, v2, v136, s17
	s_wait_dscnt 0x4
	v_add_f32_e32 v86, v86, v137
	ds_bpermute_b32 v137, v122, v5
	s_wait_dscnt 0x4
	v_dual_add_f32 v96, v96, v123 :: v_dual_cndmask_b32 v97, -v97, v97, s16
	v_dual_lshlrev_b32 v123, 2, v126 :: v_dual_bitop2_b32 v139, 4, v0 bitop3:0x40
	ds_bpermute_b32 v126, v122, v129
	ds_bpermute_b32 v136, v122, v50
	v_cndmask_b32_e64 v5, -v5, v5, s16
	v_cmp_eq_u32_e64 s17, 0, v139
	ds_bpermute_b32 v140, v123, v51
	ds_bpermute_b32 v141, v123, v13
	ds_bpermute_b32 v142, v123, v52
	s_wait_dscnt 0x8
	v_add_f32_e32 v53, v53, v135
	ds_bpermute_b32 v135, v123, v55
	s_wait_dscnt 0x7
	v_dual_add_f32 v127, v127, v132 :: v_dual_add_f32 v97, v97, v138
	v_cndmask_b32_e64 v51, -v51, v51, s17
	ds_bpermute_b32 v132, v123, v8
	ds_bpermute_b32 v138, v123, v56
	v_dual_cndmask_b32 v129, -v129, v129, s16 :: v_dual_cndmask_b32 v52, -v52, v52, s17
	s_wait_dscnt 0x8
	v_dual_add_f32 v5, v5, v137 :: v_dual_cndmask_b32 v50, -v50, v50, s16
	ds_bpermute_b32 v137, v123, v9
	ds_bpermute_b32 v139, v123, v3
	v_cndmask_b32_e64 v13, -v13, v13, s17
	s_wait_dscnt 0x9
	v_add_f32_e32 v126, v129, v126
	ds_bpermute_b32 v129, v123, v59
	s_wait_dscnt 0x9
	v_add_f32_e32 v50, v50, v136
	s_wait_dscnt 0x8
	v_add_f32_e32 v51, v51, v140
	ds_bpermute_b32 v140, v123, v60
	s_wait_dscnt 0x7
	v_dual_add_f32 v13, v13, v141 :: v_dual_add_f32 v52, v52, v142
	v_dual_cndmask_b32 v8, -v8, v8, s17 :: v_dual_cndmask_b32 v55, -v55, v55, s17
	v_dual_cndmask_b32 v9, -v9, v9, s17 :: v_dual_cndmask_b32 v56, -v56, v56, s17
	ds_bpermute_b32 v136, v123, v11
	ds_bpermute_b32 v141, v123, v10
	;; [unrolled: 1-line block ×3, first 2 shown]
	s_wait_dscnt 0x8
	v_dual_cndmask_b32 v3, -v3, v3, s17 :: v_dual_add_f32 v8, v8, v132
	s_wait_dscnt 0x6
	v_dual_add_f32 v55, v55, v135 :: v_dual_add_f32 v9, v9, v137
	s_wait_dscnt 0x5
	s_delay_alu instid0(VALU_DEP_2)
	v_dual_add_f32 v56, v56, v138 :: v_dual_add_f32 v3, v3, v139
	ds_bpermute_b32 v132, v123, v14
	ds_bpermute_b32 v135, v123, v65
	;; [unrolled: 1-line block ×3, first 2 shown]
	v_dual_cndmask_b32 v59, -v59, v59, s17 :: v_dual_cndmask_b32 v60, -v60, v60, s17
	ds_bpermute_b32 v137, v123, v4
	ds_bpermute_b32 v139, v123, v25
	v_dual_cndmask_b32 v11, -v11, v11, s17 :: v_dual_cndmask_b32 v10, -v10, v10, s17
	s_wait_dscnt 0x9
	v_dual_cndmask_b32 v64, -v64, v64, s17 :: v_dual_add_f32 v59, v59, v129
	s_wait_dscnt 0x8
	v_dual_add_f32 v60, v60, v140 :: v_dual_cndmask_b32 v14, -v14, v14, s17
	ds_bpermute_b32 v129, v123, v67
	ds_bpermute_b32 v140, v123, v69
	s_wait_dscnt 0x8
	v_dual_add_f32 v11, v11, v136 :: v_dual_add_f32 v10, v10, v141
	s_wait_dscnt 0x7
	v_dual_add_f32 v64, v64, v142 :: v_dual_cndmask_b32 v65, -v65, v65, s17
	v_dual_cndmask_b32 v4, -v4, v4, s17 :: v_dual_cndmask_b32 v66, -v66, v66, s17
	ds_bpermute_b32 v136, v123, v16
	ds_bpermute_b32 v141, v123, v15
	s_wait_dscnt 0x8
	v_dual_cndmask_b32 v25, -v25, v25, s17 :: v_dual_add_f32 v14, v14, v132
	ds_bpermute_b32 v142, v123, v70
	s_wait_dscnt 0x6
	v_dual_add_f32 v65, v65, v135 :: v_dual_add_f32 v4, v4, v137
	s_wait_dscnt 0x5
	v_dual_add_f32 v66, v66, v138 :: v_dual_add_f32 v25, v25, v139
	ds_bpermute_b32 v132, v123, v6
	ds_bpermute_b32 v135, v123, v71
	;; [unrolled: 1-line block ×3, first 2 shown]
	v_dual_cndmask_b32 v67, -v67, v67, s17 :: v_dual_cndmask_b32 v16, -v16, v16, s17
	v_dual_cndmask_b32 v69, -v69, v69, s17 :: v_dual_cndmask_b32 v15, -v15, v15, s17
	ds_bpermute_b32 v137, v123, v37
	ds_bpermute_b32 v139, v123, v20
	s_wait_dscnt 0x9
	v_dual_cndmask_b32 v70, -v70, v70, s17 :: v_dual_add_f32 v67, v67, v129
	s_wait_dscnt 0x8
	v_add_f32_e32 v69, v69, v140
	ds_bpermute_b32 v129, v123, v74
	ds_bpermute_b32 v140, v123, v75
	s_wait_dscnt 0x8
	v_dual_add_f32 v16, v16, v136 :: v_dual_add_f32 v15, v15, v141
	v_dual_cndmask_b32 v6, -v6, v6, s17 :: v_dual_cndmask_b32 v71, -v71, v71, s17
	v_dual_cndmask_b32 v37, -v37, v37, s17 :: v_dual_cndmask_b32 v72, -v72, v72, s17
	ds_bpermute_b32 v136, v123, v21
	ds_bpermute_b32 v141, v123, v22
	s_wait_dscnt 0x9
	v_dual_add_f32 v70, v70, v142 :: v_dual_cndmask_b32 v20, -v20, v20, s17
	s_wait_dscnt 0x7
	v_add_f32_e32 v71, v71, v135
	ds_bpermute_b32 v142, v123, v76
	s_wait_dscnt 0x6
	v_dual_add_f32 v6, v6, v132 :: v_dual_add_f32 v37, v37, v137
	v_dual_add_f32 v72, v72, v138 :: v_dual_cndmask_b32 v21, -v21, v21, s17
	ds_bpermute_b32 v132, v123, v30
	ds_bpermute_b32 v135, v123, v77
	;; [unrolled: 1-line block ×3, first 2 shown]
	s_wait_dscnt 0x8
	v_dual_add_f32 v20, v20, v139 :: v_dual_cndmask_b32 v74, -v74, v74, s17
	v_dual_cndmask_b32 v75, -v75, v75, s17 :: v_dual_cndmask_b32 v22, -v22, v22, s17
	ds_bpermute_b32 v137, v123, v23
	ds_bpermute_b32 v139, v123, v34
	s_wait_dscnt 0x9
	v_dual_cndmask_b32 v76, -v76, v76, s17 :: v_dual_add_f32 v74, v74, v129
	s_wait_dscnt 0x8
	v_add_f32_e32 v75, v75, v140
	ds_bpermute_b32 v129, v123, v79
	ds_bpermute_b32 v140, v123, v80
	s_wait_dscnt 0x8
	v_dual_add_f32 v21, v21, v136 :: v_dual_add_f32 v22, v22, v141
	v_dual_cndmask_b32 v30, -v30, v30, s17 :: v_dual_cndmask_b32 v77, -v77, v77, s17
	v_dual_cndmask_b32 v23, -v23, v23, s17 :: v_dual_cndmask_b32 v78, -v78, v78, s17
	ds_bpermute_b32 v136, v123, v7
	ds_bpermute_b32 v141, v123, v35
	s_wait_dscnt 0x9
	v_add_f32_e32 v76, v76, v142
	s_wait_dscnt 0x7
	v_dual_cndmask_b32 v34, -v34, v34, s17 :: v_dual_add_f32 v77, v77, v135
	ds_bpermute_b32 v142, v123, v81
	s_wait_dscnt 0x6
	v_dual_add_f32 v30, v30, v132 :: v_dual_add_f32 v23, v23, v137
	v_dual_add_f32 v78, v78, v138 :: v_dual_cndmask_b32 v79, -v79, v79, s17
	ds_bpermute_b32 v132, v123, v17
	ds_bpermute_b32 v135, v123, v88
	ds_bpermute_b32 v138, v123, v89
	s_wait_dscnt 0x8
	v_dual_add_f32 v34, v34, v139 :: v_dual_cndmask_b32 v80, -v80, v80, s17
	ds_bpermute_b32 v137, v123, v38
	ds_bpermute_b32 v139, v123, v18
	v_dual_cndmask_b32 v7, -v7, v7, s17 :: v_dual_cndmask_b32 v81, -v81, v81, s17
	s_wait_dscnt 0x8
	v_dual_cndmask_b32 v35, -v35, v35, s17 :: v_dual_add_f32 v80, v80, v140
	v_add_f32_e32 v79, v79, v129
	ds_bpermute_b32 v129, v123, v90
	ds_bpermute_b32 v140, v123, v91
	s_wait_dscnt 0x9
	v_dual_add_f32 v7, v7, v136 :: v_dual_cndmask_b32 v17, -v17, v17, s17
	s_wait_dscnt 0x8
	v_dual_add_f32 v35, v35, v141 :: v_dual_cndmask_b32 v88, -v88, v88, s17
	v_dual_cndmask_b32 v38, -v38, v38, s17 :: v_dual_cndmask_b32 v89, -v89, v89, s17
	s_wait_dscnt 0x7
	v_add_f32_e32 v81, v81, v142
	s_wait_dscnt 0x6
	v_dual_cndmask_b32 v18, -v18, v18, s17 :: v_dual_add_f32 v17, v17, v132
	ds_bpermute_b32 v136, v123, v49
	ds_bpermute_b32 v142, v123, v92
	s_wait_dscnt 0x5
	v_dual_add_f32 v88, v88, v135 :: v_dual_add_f32 v38, v38, v137
	s_wait_dscnt 0x4
	v_dual_add_f32 v89, v89, v138 :: v_dual_add_f32 v18, v18, v139
	ds_bpermute_b32 v132, v123, v39
	ds_bpermute_b32 v135, v123, v93
	;; [unrolled: 1-line block ×3, first 2 shown]
	v_dual_cndmask_b32 v90, -v90, v90, s17 :: v_dual_cndmask_b32 v49, -v49, v49, s17
	v_cndmask_b32_e64 v91, -v91, v91, s17
	ds_bpermute_b32 v137, v123, v29
	ds_bpermute_b32 v139, v123, v61
	;; [unrolled: 1-line block ×3, first 2 shown]
	v_cndmask_b32_e64 v28, -v28, v28, s17
	s_wait_dscnt 0x9
	v_dual_cndmask_b32 v92, -v92, v92, s17 :: v_dual_add_f32 v90, v90, v129
	s_wait_dscnt 0x8
	v_add_f32_e32 v91, v91, v140
	ds_bpermute_b32 v129, v123, v95
	ds_bpermute_b32 v140, v123, v98
	v_dual_cndmask_b32 v39, -v39, v39, s17 :: v_dual_cndmask_b32 v93, -v93, v93, s17
	v_dual_cndmask_b32 v29, -v29, v29, s17 :: v_dual_cndmask_b32 v94, -v94, v94, s17
	s_wait_dscnt 0x8
	v_dual_add_f32 v49, v49, v136 :: v_dual_add_f32 v92, v92, v142
	s_wait_dscnt 0x7
	v_dual_cndmask_b32 v61, -v61, v61, s17 :: v_dual_add_f32 v39, v39, v132
	ds_bpermute_b32 v136, v123, v31
	ds_bpermute_b32 v142, v123, v99
	s_wait_dscnt 0x7
	v_dual_add_f32 v93, v93, v135 :: v_dual_add_f32 v94, v94, v138
	ds_bpermute_b32 v132, v123, v19
	ds_bpermute_b32 v135, v123, v100
	;; [unrolled: 1-line block ×3, first 2 shown]
	s_wait_dscnt 0x9
	v_dual_add_f32 v29, v29, v137 :: v_dual_cndmask_b32 v95, -v95, v95, s17
	s_wait_dscnt 0x8
	v_dual_add_f32 v61, v61, v139 :: v_dual_cndmask_b32 v98, -v98, v98, s17
	ds_bpermute_b32 v137, v123, v54
	ds_bpermute_b32 v139, v123, v24
	s_wait_dscnt 0x9
	v_add_f32_e32 v28, v28, v141
	ds_bpermute_b32 v141, v123, v44
	s_wait_dscnt 0x8
	v_dual_cndmask_b32 v99, -v99, v99, s17 :: v_dual_add_f32 v98, v98, v140
	v_dual_add_f32 v95, v95, v129 :: v_dual_cndmask_b32 v100, -v100, v100, s17
	ds_bpermute_b32 v129, v123, v103
	ds_bpermute_b32 v140, v123, v104
	v_dual_cndmask_b32 v31, -v31, v31, s17 :: v_dual_cndmask_b32 v44, -v44, v44, s17
	v_dual_cndmask_b32 v19, -v19, v19, s17 :: v_dual_cndmask_b32 v54, -v54, v54, s17
	s_wait_dscnt 0x9
	s_delay_alu instid0(VALU_DEP_2)
	v_dual_cndmask_b32 v102, -v102, v102, s17 :: v_dual_add_f32 v31, v31, v136
	s_wait_dscnt 0x8
	v_dual_add_f32 v99, v99, v142 :: v_dual_cndmask_b32 v24, -v24, v24, s17
	ds_bpermute_b32 v136, v123, v57
	s_wait_dscnt 0x7
	v_dual_add_f32 v19, v19, v132 :: v_dual_add_f32 v100, v100, v135
	s_wait_dscnt 0x5
	v_add_f32_e32 v54, v54, v137
	s_wait_dscnt 0x4
	v_dual_add_f32 v102, v102, v138 :: v_dual_add_f32 v24, v24, v139
	ds_bpermute_b32 v132, v123, v58
	ds_bpermute_b32 v135, v123, v106
	;; [unrolled: 1-line block ×3, first 2 shown]
	v_dual_cndmask_b32 v103, -v103, v103, s17 :: v_dual_cndmask_b32 v57, -v57, v57, s17
	v_cndmask_b32_e64 v104, -v104, v104, s17
	ds_bpermute_b32 v137, v123, v27
	ds_bpermute_b32 v139, v123, v62
	s_wait_dscnt 0x8
	v_add_f32_e32 v44, v44, v141
	ds_bpermute_b32 v141, v123, v26
	ds_bpermute_b32 v142, v123, v105
	v_dual_cndmask_b32 v26, -v26, v26, s17 :: v_dual_cndmask_b32 v105, -v105, v105, s17
	s_wait_dscnt 0x8
	v_dual_add_f32 v104, v104, v140 :: v_dual_add_f32 v103, v103, v129
	s_wait_dscnt 0x7
	v_add_f32_e32 v57, v57, v136
	ds_bpermute_b32 v129, v123, v108
	ds_bpermute_b32 v140, v123, v109
	v_dual_cndmask_b32 v58, -v58, v58, s17 :: v_dual_cndmask_b32 v27, -v27, v27, s17
	v_dual_cndmask_b32 v106, -v106, v106, s17 :: v_dual_cndmask_b32 v107, -v107, v107, s17
	v_cndmask_b32_e64 v62, -v62, v62, s17
	ds_bpermute_b32 v136, v123, v32
	s_wait_dscnt 0x9
	v_add_f32_e32 v58, v58, v132
	s_wait_dscnt 0x8
	v_dual_add_f32 v106, v106, v135 :: v_dual_cndmask_b32 v108, -v108, v108, s17
	s_wait_dscnt 0x7
	v_add_f32_e32 v107, v107, v138
	ds_bpermute_b32 v132, v123, v40
	ds_bpermute_b32 v135, v123, v111
	;; [unrolled: 1-line block ×3, first 2 shown]
	s_wait_dscnt 0x8
	v_dual_add_f32 v27, v27, v137 :: v_dual_add_f32 v62, v62, v139
	v_dual_cndmask_b32 v32, -v32, v32, s17 :: v_dual_cndmask_b32 v109, -v109, v109, s17
	ds_bpermute_b32 v137, v123, v63
	ds_bpermute_b32 v139, v123, v33
	s_wait_dscnt 0x8
	v_dual_add_f32 v26, v26, v141 :: v_dual_add_f32 v105, v105, v142
	ds_bpermute_b32 v141, v123, v73
	ds_bpermute_b32 v142, v123, v110
	s_wait_dscnt 0x9
	v_dual_cndmask_b32 v110, -v110, v110, s17 :: v_dual_add_f32 v108, v108, v129
	s_wait_dscnt 0x8
	v_add_f32_e32 v109, v109, v140
	ds_bpermute_b32 v129, v123, v113
	ds_bpermute_b32 v140, v123, v114
	v_dual_cndmask_b32 v40, -v40, v40, s17 :: v_dual_cndmask_b32 v111, -v111, v111, s17
	v_dual_cndmask_b32 v63, -v63, v63, s17 :: v_dual_cndmask_b32 v112, -v112, v112, s17
	s_wait_dscnt 0x9
	v_dual_cndmask_b32 v73, -v73, v73, s17 :: v_dual_add_f32 v32, v32, v136
	s_wait_dscnt 0x8
	v_dual_cndmask_b32 v33, -v33, v33, s17 :: v_dual_add_f32 v40, v40, v132
	ds_bpermute_b32 v136, v123, v87
	s_wait_dscnt 0x7
	v_dual_add_f32 v111, v111, v135 :: v_dual_add_f32 v112, v112, v138
	ds_bpermute_b32 v132, v123, v68
	ds_bpermute_b32 v138, v123, v117
	s_wait_dscnt 0x7
	v_dual_add_f32 v63, v63, v137 :: v_dual_add_f32 v33, v33, v139
	v_dual_cndmask_b32 v113, -v113, v113, s17 :: v_dual_cndmask_b32 v87, -v87, v87, s17
	v_cndmask_b32_e64 v114, -v114, v114, s17
	ds_bpermute_b32 v135, v123, v116
	ds_bpermute_b32 v137, v123, v41
	;; [unrolled: 1-line block ×3, first 2 shown]
	s_wait_dscnt 0x8
	v_dual_add_f32 v73, v73, v141 :: v_dual_add_f32 v110, v110, v142
	ds_bpermute_b32 v141, v123, v36
	ds_bpermute_b32 v142, v123, v115
	v_dual_cndmask_b32 v36, -v36, v36, s17 :: v_dual_cndmask_b32 v115, -v115, v115, s17
	s_wait_dscnt 0x8
	v_dual_add_f32 v113, v113, v129 :: v_dual_add_f32 v114, v114, v140
	ds_bpermute_b32 v129, v123, v118
	ds_bpermute_b32 v140, v123, v119
	v_dual_cndmask_b32 v68, -v68, v68, s17 :: v_dual_cndmask_b32 v41, -v41, v41, s17
	v_dual_cndmask_b32 v116, -v116, v116, s17 :: v_dual_cndmask_b32 v117, -v117, v117, s17
	s_wait_dscnt 0x9
	v_dual_add_f32 v87, v87, v136 :: v_dual_cndmask_b32 v82, -v82, v82, s17
	s_wait_dscnt 0x8
	v_add_f32_e32 v68, v68, v132
	ds_bpermute_b32 v136, v123, v42
	s_wait_dscnt 0x8
	v_add_f32_e32 v117, v117, v138
	ds_bpermute_b32 v132, v123, v43
	ds_bpermute_b32 v138, v123, v134
	s_wait_dscnt 0x8
	v_dual_add_f32 v116, v116, v135 :: v_dual_add_f32 v41, v41, v137
	s_wait_dscnt 0x7
	v_add_f32_e32 v82, v82, v139
	v_dual_cndmask_b32 v118, -v118, v118, s17 :: v_dual_cndmask_b32 v119, -v119, v119, s17
	ds_bpermute_b32 v135, v123, v121
	ds_bpermute_b32 v137, v123, v84
	;; [unrolled: 1-line block ×3, first 2 shown]
	s_wait_dscnt 0x8
	v_add_f32_e32 v115, v115, v142
	ds_bpermute_b32 v142, v123, v120
	s_wait_dscnt 0x8
	v_dual_cndmask_b32 v120, -v120, v120, s17 :: v_dual_add_f32 v118, v118, v129
	s_wait_dscnt 0x7
	v_add_f32_e32 v119, v119, v140
	v_dual_cndmask_b32 v84, -v84, v84, s17 :: v_dual_cndmask_b32 v129, -v134, v134, s17
	ds_bpermute_b32 v134, v123, v131
	ds_bpermute_b32 v140, v123, v128
	v_dual_cndmask_b32 v42, -v42, v42, s17 :: v_dual_cndmask_b32 v43, -v43, v43, s17
	v_cndmask_b32_e64 v121, -v121, v121, s17
	v_add_f32_e32 v36, v36, v141
	ds_bpermute_b32 v141, v123, v83
	s_wait_dscnt 0x9
	v_dual_cndmask_b32 v83, -v83, v83, s17 :: v_dual_add_f32 v42, v42, v136
	s_wait_dscnt 0x8
	v_dual_cndmask_b32 v45, -v45, v45, s17 :: v_dual_add_f32 v43, v43, v132
	ds_bpermute_b32 v136, v123, v85
	s_wait_dscnt 0x8
	v_dual_add_f32 v129, v129, v138 :: v_dual_cndmask_b32 v131, -v131, v131, s17
	ds_bpermute_b32 v132, v123, v101
	ds_bpermute_b32 v138, v123, v124
	s_wait_dscnt 0x8
	v_dual_add_f32 v121, v121, v135 :: v_dual_add_f32 v84, v84, v137
	s_wait_dscnt 0x7
	v_dual_add_f32 v45, v45, v139 :: v_dual_cndmask_b32 v128, -v128, v128, s17
	ds_bpermute_b32 v135, v123, v133
	ds_bpermute_b32 v137, v123, v47
	;; [unrolled: 1-line block ×3, first 2 shown]
	s_wait_dscnt 0x9
	v_add_f32_e32 v120, v120, v142
	ds_bpermute_b32 v142, v123, v125
	s_wait_dscnt 0x9
	v_dual_cndmask_b32 v125, -v125, v125, s17 :: v_dual_add_f32 v131, v131, v134
	s_wait_dscnt 0x8
	v_add_f32_e32 v128, v128, v140
	ds_bpermute_b32 v134, v123, v130
	ds_bpermute_b32 v140, v123, v12
	v_cndmask_b32_e64 v85, -v85, v85, s17
	v_dual_cndmask_b32 v101, -v101, v101, s17 :: v_dual_cndmask_b32 v47, -v47, v47, s17
	v_dual_cndmask_b32 v133, -v133, v133, s17 :: v_dual_cndmask_b32 v124, -v124, v124, s17
	s_wait_dscnt 0x9
	v_add_f32_e32 v83, v83, v141
	ds_bpermute_b32 v141, v123, v46
	s_wait_dscnt 0x9
	v_dual_cndmask_b32 v46, -v46, v46, s17 :: v_dual_add_f32 v85, v85, v136
	ds_bpermute_b32 v136, v123, v48
	s_wait_dscnt 0x9
	v_dual_cndmask_b32 v86, -v86, v86, s17 :: v_dual_add_f32 v101, v101, v132
	s_wait_dscnt 0x8
	v_add_f32_e32 v124, v124, v138
	v_dual_cndmask_b32 v12, -v12, v12, s17 :: v_dual_bitop2_b32 v138, 8, v2 bitop3:0x14
	s_wait_dscnt 0x6
	v_dual_add_f32 v132, v133, v135 :: v_dual_add_f32 v47, v47, v137
	s_wait_dscnt 0x5
	v_add_f32_e32 v86, v86, v139
	v_dual_cndmask_b32 v130, -v130, v130, s17 :: v_dual_cndmask_b32 v48, -v48, v48, s17
	ds_bpermute_b32 v133, v123, v96
	ds_bpermute_b32 v135, v123, v127
	;; [unrolled: 1-line block ×4, first 2 shown]
	v_cmp_gt_i32_e64 s18, 32, v138
	s_wait_dscnt 0x6
	v_dual_add_f32 v130, v130, v134 :: v_dual_add_f32 v12, v12, v140
	s_wait_dscnt 0x5
	v_dual_add_f32 v46, v46, v141 :: v_dual_add_f32 v125, v125, v142
	v_dual_cndmask_b32 v134, v2, v138, s18 :: v_dual_cndmask_b32 v53, -v53, v53, s17
	s_wait_dscnt 0x4
	v_add_f32_e32 v48, v48, v136
	v_dual_cndmask_b32 v96, -v96, v96, s17 :: v_dual_cndmask_b32 v127, -v127, v127, s17
	s_delay_alu instid0(VALU_DEP_3)
	v_dual_lshlrev_b32 v134, 2, v134 :: v_dual_cndmask_b32 v5, -v5, v5, s17
	v_and_b32_e32 v141, 8, v0
	ds_bpermute_b32 v136, v123, v97
	ds_bpermute_b32 v138, v123, v126
	;; [unrolled: 1-line block ×5, first 2 shown]
	s_wait_dscnt 0x7
	v_dual_add_f32 v96, v96, v133 :: v_dual_add_f32 v127, v127, v135
	s_wait_dscnt 0x6
	v_dual_add_f32 v53, v53, v137 :: v_dual_cndmask_b32 v126, -v126, v126, s17
	s_wait_dscnt 0x5
	v_dual_add_f32 v5, v5, v139 :: v_dual_cndmask_b32 v50, -v50, v50, s17
	v_cmp_eq_u32_e64 s18, 0, v141
	ds_bpermute_b32 v133, v134, v52
	ds_bpermute_b32 v135, v134, v8
	;; [unrolled: 1-line block ×5, first 2 shown]
	v_dual_cndmask_b32 v97, -v97, v97, s17 :: v_dual_cndmask_b32 v51, -v51, v51, s18
	v_dual_cndmask_b32 v13, -v13, v13, s18 :: v_dual_cndmask_b32 v52, -v52, v52, s18
	s_wait_dscnt 0x9
	s_delay_alu instid0(VALU_DEP_2)
	v_dual_cndmask_b32 v55, -v55, v55, s18 :: v_dual_add_f32 v97, v97, v136
	s_wait_dscnt 0x6
	v_add_f32_e32 v51, v51, v142
	v_add_f32_e32 v126, v126, v138
	s_wait_dscnt 0x5
	v_dual_add_f32 v50, v50, v140 :: v_dual_add_f32 v13, v13, v143
	v_dual_cndmask_b32 v8, -v8, v8, s18 :: v_dual_cndmask_b32 v9, -v9, v9, s18
	v_cndmask_b32_e64 v56, -v56, v56, s18
	ds_bpermute_b32 v136, v134, v3
	ds_bpermute_b32 v138, v134, v59
	;; [unrolled: 1-line block ×5, first 2 shown]
	s_wait_dscnt 0x6
	v_dual_add_f32 v52, v52, v133 :: v_dual_add_f32 v9, v9, v139
	v_dual_add_f32 v8, v8, v135 :: v_dual_cndmask_b32 v10, -v10, v10, s18
	v_add_f32_e32 v55, v55, v137
	s_wait_dscnt 0x5
	v_dual_add_f32 v56, v56, v141 :: v_dual_cndmask_b32 v3, -v3, v3, s18
	ds_bpermute_b32 v133, v134, v64
	ds_bpermute_b32 v135, v134, v14
	;; [unrolled: 1-line block ×5, first 2 shown]
	v_dual_cndmask_b32 v59, -v59, v59, s18 :: v_dual_cndmask_b32 v60, -v60, v60, s18
	v_cndmask_b32_e64 v11, -v11, v11, s18
	s_wait_dscnt 0x9
	v_add_f32_e32 v3, v3, v136
	s_wait_dscnt 0x8
	v_dual_cndmask_b32 v64, -v64, v64, s18 :: v_dual_add_f32 v59, v59, v138
	s_wait_dscnt 0x6
	v_dual_add_f32 v60, v60, v142 :: v_dual_add_f32 v11, v11, v140
	v_cndmask_b32_e64 v14, -v14, v14, s18
	s_wait_dscnt 0x5
	v_dual_add_f32 v10, v10, v143 :: v_dual_cndmask_b32 v65, -v65, v65, s18
	v_dual_cndmask_b32 v4, -v4, v4, s18 :: v_dual_cndmask_b32 v66, -v66, v66, s18
	ds_bpermute_b32 v136, v134, v25
	ds_bpermute_b32 v138, v134, v67
	;; [unrolled: 1-line block ×5, first 2 shown]
	s_wait_dscnt 0x8
	v_dual_add_f32 v64, v64, v133 :: v_dual_add_f32 v14, v14, v135
	s_wait_dscnt 0x6
	v_dual_add_f32 v65, v65, v137 :: v_dual_add_f32 v4, v4, v139
	s_wait_dscnt 0x5
	v_add_f32_e32 v66, v66, v141
	ds_bpermute_b32 v133, v134, v70
	ds_bpermute_b32 v135, v134, v6
	;; [unrolled: 1-line block ×5, first 2 shown]
	v_dual_cndmask_b32 v25, -v25, v25, s18 :: v_dual_cndmask_b32 v67, -v67, v67, s18
	v_dual_cndmask_b32 v16, -v16, v16, s18 :: v_dual_cndmask_b32 v69, -v69, v69, s18
	s_wait_dscnt 0x9
	s_delay_alu instid0(VALU_DEP_2) | instskip(SKIP_1) | instid1(VALU_DEP_2)
	v_dual_cndmask_b32 v15, -v15, v15, s18 :: v_dual_add_f32 v25, v25, v136
	s_wait_dscnt 0x7
	v_dual_add_f32 v67, v67, v138 :: v_dual_add_f32 v16, v16, v140
	s_wait_dscnt 0x5
	s_delay_alu instid0(VALU_DEP_2) | instskip(SKIP_3) | instid1(VALU_DEP_2)
	v_dual_add_f32 v69, v69, v142 :: v_dual_add_f32 v15, v15, v143
	v_dual_cndmask_b32 v70, -v70, v70, s18 :: v_dual_cndmask_b32 v71, -v71, v71, s18
	v_dual_cndmask_b32 v6, -v6, v6, s18 :: v_dual_cndmask_b32 v37, -v37, v37, s18
	s_wait_dscnt 0x4
	v_dual_cndmask_b32 v72, -v72, v72, s18 :: v_dual_add_f32 v70, v70, v133
	ds_bpermute_b32 v136, v134, v20
	ds_bpermute_b32 v138, v134, v74
	;; [unrolled: 1-line block ×5, first 2 shown]
	s_wait_dscnt 0x7
	v_dual_add_f32 v6, v6, v135 :: v_dual_add_f32 v71, v71, v137
	s_wait_dscnt 0x5
	v_dual_add_f32 v133, v37, v139 :: v_dual_add_f32 v72, v72, v141
	v_dual_cndmask_b32 v20, -v20, v20, s18 :: v_dual_cndmask_b32 v37, -v74, v74, s18
	v_dual_cndmask_b32 v21, -v21, v21, s18 :: v_dual_cndmask_b32 v74, -v75, v75, s18
	ds_bpermute_b32 v75, v134, v76
	ds_bpermute_b32 v135, v134, v30
	;; [unrolled: 1-line block ×5, first 2 shown]
	v_cndmask_b32_e64 v22, -v22, v22, s18
	s_wait_dscnt 0x9
	v_dual_cndmask_b32 v30, -v30, v30, s18 :: v_dual_add_f32 v20, v20, v136
	s_wait_dscnt 0x8
	v_add_f32_e32 v136, v37, v138
	s_wait_dscnt 0x6
	v_dual_add_f32 v21, v21, v140 :: v_dual_add_f32 v74, v74, v142
	s_wait_dscnt 0x5
	v_dual_add_f32 v22, v22, v143 :: v_dual_cndmask_b32 v37, -v76, v76, s18
	v_dual_cndmask_b32 v76, -v77, v77, s18 :: v_dual_cndmask_b32 v23, -v23, v23, s18
	v_cndmask_b32_e64 v77, -v78, v78, s18
	ds_bpermute_b32 v78, v134, v34
	ds_bpermute_b32 v138, v134, v79
	ds_bpermute_b32 v140, v134, v7
	ds_bpermute_b32 v142, v134, v80
	ds_bpermute_b32 v143, v134, v35
	s_wait_dscnt 0x9
	v_add_f32_e32 v75, v37, v75
	s_wait_dscnt 0x7
	v_dual_add_f32 v30, v30, v135 :: v_dual_add_f32 v76, v76, v137
	s_wait_dscnt 0x5
	v_dual_add_f32 v23, v23, v139 :: v_dual_add_f32 v77, v77, v141
	v_dual_cndmask_b32 v34, -v34, v34, s18 :: v_dual_cndmask_b32 v37, -v79, v79, s18
	v_dual_cndmask_b32 v7, -v7, v7, s18 :: v_dual_cndmask_b32 v79, -v80, v80, s18
	ds_bpermute_b32 v80, v134, v81
	ds_bpermute_b32 v135, v134, v17
	;; [unrolled: 1-line block ×5, first 2 shown]
	s_wait_dscnt 0x9
	v_dual_cndmask_b32 v35, -v35, v35, s18 :: v_dual_add_f32 v78, v34, v78
	s_wait_dscnt 0x7
	v_dual_add_f32 v138, v37, v138 :: v_dual_add_f32 v7, v7, v140
	s_wait_dscnt 0x6
	v_dual_add_f32 v79, v79, v142 :: v_dual_cndmask_b32 v34, -v81, v81, s18
	s_wait_dscnt 0x5
	v_dual_add_f32 v140, v35, v143 :: v_dual_cndmask_b32 v17, -v17, v17, s18
	v_dual_cndmask_b32 v35, -v88, v88, s18 :: v_dual_cndmask_b32 v37, -v38, v38, s18
	v_cndmask_b32_e64 v38, -v89, v89, s18
	ds_bpermute_b32 v81, v134, v18
	ds_bpermute_b32 v88, v134, v90
	;; [unrolled: 1-line block ×5, first 2 shown]
	s_wait_dscnt 0x8
	v_dual_add_f32 v80, v34, v80 :: v_dual_add_f32 v17, v17, v135
	s_wait_dscnt 0x6
	v_dual_add_f32 v135, v35, v137 :: v_dual_add_f32 v137, v37, v139
	s_wait_dscnt 0x5
	v_add_f32_e32 v139, v38, v141
	v_dual_cndmask_b32 v18, -v18, v18, s18 :: v_dual_cndmask_b32 v35, -v49, v49, s18
	v_dual_cndmask_b32 v34, -v90, v90, s18 :: v_dual_cndmask_b32 v37, -v91, v91, s18
	ds_bpermute_b32 v38, v134, v92
	ds_bpermute_b32 v49, v134, v39
	;; [unrolled: 1-line block ×4, first 2 shown]
	v_cndmask_b32_e64 v28, -v28, v28, s18
	ds_bpermute_b32 v90, v134, v93
	s_wait_dscnt 0x9
	v_add_f32_e32 v18, v18, v81
	s_wait_dscnt 0x7
	v_dual_add_f32 v81, v34, v88 :: v_dual_add_f32 v88, v35, v89
	s_wait_dscnt 0x5
	v_dual_add_f32 v89, v37, v142 :: v_dual_add_f32 v28, v28, v143
	v_dual_cndmask_b32 v34, -v92, v92, s18 :: v_dual_cndmask_b32 v35, -v39, v39, s18
	v_dual_cndmask_b32 v37, -v93, v93, s18 :: v_dual_cndmask_b32 v39, -v94, v94, s18
	v_cndmask_b32_e64 v29, -v29, v29, s18
	ds_bpermute_b32 v92, v134, v61
	ds_bpermute_b32 v93, v134, v95
	ds_bpermute_b32 v94, v134, v31
	ds_bpermute_b32 v142, v134, v98
	ds_bpermute_b32 v143, v134, v44
	s_wait_dscnt 0x8
	v_dual_add_f32 v144, v34, v38 :: v_dual_add_f32 v145, v35, v49
	s_wait_dscnt 0x6
	v_dual_add_f32 v29, v29, v91 :: v_dual_add_f32 v91, v39, v141
	v_dual_cndmask_b32 v34, -v61, v61, s18 :: v_dual_cndmask_b32 v35, -v95, v95, s18
	v_cndmask_b32_e64 v38, -v44, v44, s18
	ds_bpermute_b32 v39, v134, v99
	ds_bpermute_b32 v44, v134, v19
	;; [unrolled: 1-line block ×5, first 2 shown]
	s_wait_dscnt 0xa
	v_dual_add_f32 v90, v37, v90 :: v_dual_cndmask_b32 v31, -v31, v31, s18
	v_cndmask_b32_e64 v37, -v98, v98, s18
	s_wait_dscnt 0x8
	v_dual_add_f32 v92, v34, v92 :: v_dual_add_f32 v93, v35, v93
	v_dual_cndmask_b32 v34, -v99, v99, s18 :: v_dual_cndmask_b32 v35, -v100, v100, s18
	s_wait_dscnt 0x7
	v_add_f32_e32 v31, v31, v94
	s_wait_dscnt 0x5
	v_dual_add_f32 v94, v37, v142 :: v_dual_add_f32 v98, v38, v143
	v_dual_cndmask_b32 v19, -v19, v19, s18 :: v_dual_cndmask_b32 v37, -v54, v54, s18
	v_cndmask_b32_e64 v38, -v102, v102, s18
	ds_bpermute_b32 v54, v134, v24
	ds_bpermute_b32 v99, v134, v103
	;; [unrolled: 1-line block ×5, first 2 shown]
	s_wait_dscnt 0x7
	v_dual_add_f32 v142, v34, v39 :: v_dual_add_f32 v143, v35, v49
	s_wait_dscnt 0x6
	v_dual_add_f32 v19, v19, v44 :: v_dual_add_f32 v146, v37, v61
	s_wait_dscnt 0x5
	v_dual_add_f32 v95, v38, v95 :: v_dual_cndmask_b32 v35, -v57, v57, s18
	v_cndmask_b32_e64 v37, -v104, v104, s18
	ds_bpermute_b32 v38, v134, v105
	ds_bpermute_b32 v39, v134, v58
	;; [unrolled: 1-line block ×4, first 2 shown]
	v_dual_cndmask_b32 v24, -v24, v24, s18 :: v_dual_cndmask_b32 v34, -v103, v103, s18
	ds_bpermute_b32 v49, v134, v27
	v_cndmask_b32_e64 v26, -v26, v26, s18
	ds_bpermute_b32 v61, v134, v108
	s_wait_dscnt 0x9
	v_dual_add_f32 v24, v24, v54 :: v_dual_add_f32 v99, v34, v99
	s_wait_dscnt 0x7
	v_dual_add_f32 v100, v35, v100 :: v_dual_add_f32 v102, v37, v102
	s_wait_dscnt 0x6
	v_add_f32_e32 v26, v26, v141
	v_dual_cndmask_b32 v34, -v105, v105, s18 :: v_dual_cndmask_b32 v35, -v58, v58, s18
	v_dual_cndmask_b32 v37, -v106, v106, s18 :: v_dual_cndmask_b32 v27, -v27, v27, s18
	v_cndmask_b32_e64 v54, -v107, v107, s18
	ds_bpermute_b32 v58, v134, v62
	ds_bpermute_b32 v103, v134, v32
	;; [unrolled: 1-line block ×4, first 2 shown]
	s_wait_dscnt 0x8
	v_dual_add_f32 v106, v34, v38 :: v_dual_add_f32 v107, v35, v39
	s_wait_dscnt 0x6
	v_dual_add_f32 v141, v37, v44 :: v_dual_add_f32 v147, v54, v57
	v_cndmask_b32_e64 v35, -v108, v108, s18
	ds_bpermute_b32 v39, v134, v110
	ds_bpermute_b32 v44, v134, v40
	;; [unrolled: 1-line block ×4, first 2 shown]
	s_wait_dscnt 0x9
	v_dual_add_f32 v27, v27, v49 :: v_dual_cndmask_b32 v34, -v62, v62, s18
	v_dual_cndmask_b32 v32, -v32, v32, s18 :: v_dual_cndmask_b32 v37, -v109, v109, s18
	v_cndmask_b32_e64 v38, -v73, v73, s18
	ds_bpermute_b32 v49, v134, v111
	s_wait_dscnt 0x8
	v_dual_add_f32 v109, v35, v61 :: v_dual_add_f32 v108, v34, v58
	s_wait_dscnt 0x6
	v_dual_add_f32 v103, v32, v103 :: v_dual_add_f32 v104, v37, v104
	s_wait_dscnt 0x5
	v_add_f32_e32 v148, v38, v105
	v_dual_cndmask_b32 v32, -v110, v110, s18 :: v_dual_cndmask_b32 v34, -v40, v40, s18
	v_dual_cndmask_b32 v35, -v111, v111, s18 :: v_dual_cndmask_b32 v38, -v112, v112, s18
	v_cndmask_b32_e64 v37, -v63, v63, s18
	ds_bpermute_b32 v40, v134, v33
	ds_bpermute_b32 v58, v134, v113
	;; [unrolled: 1-line block ×5, first 2 shown]
	s_wait_dscnt 0x8
	v_dual_add_f32 v110, v32, v39 :: v_dual_add_f32 v111, v34, v44
	s_wait_dscnt 0x6
	v_dual_add_f32 v149, v37, v54 :: v_dual_add_f32 v150, v38, v57
	ds_bpermute_b32 v37, v134, v115
	ds_bpermute_b32 v38, v134, v68
	;; [unrolled: 1-line block ×4, first 2 shown]
	s_wait_dscnt 0x9
	v_add_f32_e32 v112, v35, v49
	v_dual_cndmask_b32 v32, -v33, v33, s18 :: v_dual_cndmask_b32 v34, -v87, v87, s18
	v_dual_cndmask_b32 v33, -v113, v113, s18 :: v_dual_cndmask_b32 v35, -v114, v114, s18
	ds_bpermute_b32 v49, v134, v117
	v_cndmask_b32_e64 v36, -v36, v36, s18
	s_wait_dscnt 0x8
	v_dual_add_f32 v113, v32, v40 :: v_dual_add_f32 v114, v33, v58
	s_wait_dscnt 0x6
	v_dual_add_f32 v151, v34, v61 :: v_dual_add_f32 v152, v35, v62
	s_wait_dscnt 0x5
	v_add_f32_e32 v153, v36, v63
	v_dual_cndmask_b32 v32, -v115, v115, s18 :: v_dual_cndmask_b32 v33, -v68, v68, s18
	v_dual_cndmask_b32 v34, -v116, v116, s18 :: v_dual_cndmask_b32 v35, -v41, v41, s18
	ds_bpermute_b32 v40, v134, v82
	ds_bpermute_b32 v41, v134, v118
	;; [unrolled: 1-line block ×5, first 2 shown]
	s_wait_dscnt 0x7
	v_dual_cndmask_b32 v36, -v117, v117, s18 :: v_dual_add_f32 v117, v34, v39
	v_dual_add_f32 v115, v32, v37 :: v_dual_add_f32 v116, v33, v38
	s_wait_dscnt 0x5
	s_delay_alu instid0(VALU_DEP_2)
	v_dual_add_f32 v154, v35, v44 :: v_dual_add_f32 v155, v36, v49
	v_dual_cndmask_b32 v32, -v82, v82, s18 :: v_dual_cndmask_b32 v35, -v119, v119, s18
	v_cndmask_b32_e64 v34, -v42, v42, s18
	ds_bpermute_b32 v37, v134, v120
	ds_bpermute_b32 v38, v134, v43
	;; [unrolled: 1-line block ×5, first 2 shown]
	v_dual_cndmask_b32 v33, -v118, v118, s18 :: v_dual_cndmask_b32 v36, -v83, v83, s18
	s_wait_dscnt 0x7
	v_dual_add_f32 v156, v32, v40 :: v_dual_add_f32 v158, v34, v54
	s_wait_dscnt 0x6
	v_add_f32_e32 v159, v35, v57
	s_wait_dscnt 0x5
	v_dual_add_f32 v157, v33, v41 :: v_dual_add_f32 v160, v36, v58
	v_dual_cndmask_b32 v32, -v120, v120, s18 :: v_dual_cndmask_b32 v33, -v43, v43, s18
	v_dual_cndmask_b32 v34, -v121, v121, s18 :: v_dual_cndmask_b32 v35, -v84, v84, s18
	v_cndmask_b32_e64 v36, -v129, v129, s18
	ds_bpermute_b32 v40, v134, v45
	ds_bpermute_b32 v41, v134, v131
	;; [unrolled: 1-line block ×5, first 2 shown]
	s_wait_dscnt 0x8
	v_dual_add_f32 v84, v32, v37 :: v_dual_add_f32 v161, v33, v38
	s_wait_dscnt 0x6
	v_dual_add_f32 v162, v34, v39 :: v_dual_add_f32 v163, v35, v42
	s_wait_dscnt 0x5
	v_add_f32_e32 v164, v36, v44
	ds_bpermute_b32 v36, v134, v125
	ds_bpermute_b32 v38, v134, v132
	;; [unrolled: 1-line block ×3, first 2 shown]
	v_dual_cndmask_b32 v32, -v45, v45, s18 :: v_dual_cndmask_b32 v33, -v131, v131, s18
	v_dual_cndmask_b32 v34, -v85, v85, s18 :: v_dual_cndmask_b32 v35, -v128, v128, s18
	ds_bpermute_b32 v39, v134, v47
	v_cndmask_b32_e64 v44, -v46, v46, s18
	ds_bpermute_b32 v42, v134, v124
	s_wait_dscnt 0x8
	v_dual_add_f32 v85, v32, v40 :: v_dual_add_f32 v131, v33, v41
	s_wait_dscnt 0x6
	v_dual_add_f32 v166, v35, v49 :: v_dual_add_f32 v167, v44, v54
	v_dual_cndmask_b32 v32, -v125, v125, s18 :: v_dual_cndmask_b32 v41, -v132, v132, s18
	ds_bpermute_b32 v33, v134, v86
	ds_bpermute_b32 v44, v134, v12
	s_wait_dscnt 0x7
	v_dual_add_f32 v165, v34, v43 :: v_dual_cndmask_b32 v34, -v101, v101, s18
	v_cndmask_b32_e64 v43, -v47, v47, s18
	ds_bpermute_b32 v35, v134, v130
	ds_bpermute_b32 v40, v134, v48
	s_wait_dscnt 0x6
	v_dual_cndmask_b32 v45, -v124, v124, s18 :: v_dual_add_f32 v125, v34, v37
	v_dual_add_f32 v124, v32, v36 :: v_dual_add_f32 v168, v41, v38
	v_dual_cndmask_b32 v12, -v12, v12, s18 :: v_dual_bitop2_b32 v41, 16, v2 bitop3:0x14
	ds_bpermute_b32 v37, v134, v96
	ds_bpermute_b32 v38, v134, v127
	s_wait_dscnt 0x6
	v_dual_add_f32 v169, v43, v39 :: v_dual_add_f32 v170, v45, v42
	v_cmp_gt_i32_e64 s19, 32, v41
	v_dual_cndmask_b32 v32, -v86, v86, s18 :: v_dual_cndmask_b32 v36, -v48, v48, s18
	ds_bpermute_b32 v39, v134, v53
	v_cndmask_b32_e64 v34, -v130, v130, s18
	s_wait_dscnt 0x5
	v_dual_cndmask_b32 v2, v2, v41, s19 :: v_dual_add_f32 v173, v12, v44
	v_add_f32_e32 v130, v32, v33
	s_wait_dscnt 0x4
	v_dual_cndmask_b32 v33, -v53, v53, s18 :: v_dual_add_f32 v171, v34, v35
	s_wait_dscnt 0x3
	v_dual_add_f32 v172, v36, v40 :: v_dual_lshlrev_b32 v174, 2, v2
	v_dual_cndmask_b32 v12, -v96, v96, s18 :: v_dual_cndmask_b32 v32, -v127, v127, s18
	ds_bpermute_b32 v2, v134, v5
	ds_bpermute_b32 v34, v134, v97
	;; [unrolled: 1-line block ×3, first 2 shown]
	s_wait_dscnt 0x5
	v_add_f32_e32 v175, v12, v37
	s_wait_dscnt 0x4
	v_dual_add_f32 v176, v32, v38 :: v_dual_bitop2_b32 v12, 16, v0 bitop3:0x40
	ds_bpermute_b32 v36, v134, v50
	v_cndmask_b32_e64 v5, -v5, v5, s18
	v_dual_cndmask_b32 v32, -v97, v97, s18 :: v_dual_cndmask_b32 v37, -v50, v50, s18
	s_wait_dscnt 0x4
	v_dual_add_f32 v177, v33, v39 :: v_dual_cndmask_b32 v33, -v126, v126, s18
	v_cmp_eq_u32_e64 s18, 0, v12
	ds_bpermute_b32 v35, v134, v126
	ds_bpermute_b32 v38, v174, v13
	;; [unrolled: 1-line block ×4, first 2 shown]
	v_cndmask_b32_e64 v12, -v51, v51, s18
	ds_bpermute_b32 v42, v174, v55
	ds_bpermute_b32 v43, v174, v9
	s_wait_dscnt 0x9
	v_add_f32_e32 v178, v5, v2
	s_wait_dscnt 0x8
	v_add_f32_e32 v179, v32, v34
	s_wait_dscnt 0x7
	v_dual_add_f32 v32, v12, v40 :: v_dual_cndmask_b32 v2, -v13, v13, s18
	ds_bpermute_b32 v13, v174, v56
	ds_bpermute_b32 v40, v174, v3
	;; [unrolled: 1-line block ×4, first 2 shown]
	s_wait_dscnt 0xa
	v_dual_add_f32 v181, v37, v36 :: v_dual_cndmask_b32 v12, -v55, v55, s18
	v_dual_cndmask_b32 v5, -v52, v52, s18 :: v_dual_cndmask_b32 v9, -v9, v9, s18
	v_cndmask_b32_e64 v8, -v8, v8, s18
	ds_bpermute_b32 v45, v174, v11
	s_wait_dscnt 0x9
	v_dual_add_f32 v180, v33, v35 :: v_dual_add_f32 v33, v2, v38
	s_wait_dscnt 0x7
	v_dual_add_f32 v34, v5, v39 :: v_dual_add_f32 v35, v8, v41
	;; [unrolled: 2-line block ×3, first 2 shown]
	v_dual_cndmask_b32 v2, -v56, v56, s18 :: v_dual_cndmask_b32 v3, -v3, v3, s18
	v_dual_cndmask_b32 v5, -v59, v59, s18 :: v_dual_cndmask_b32 v9, -v60, v60, s18
	s_wait_dscnt 0x4
	s_delay_alu instid0(VALU_DEP_2)
	v_dual_cndmask_b32 v8, -v11, v11, s18 :: v_dual_add_f32 v38, v2, v13
	ds_bpermute_b32 v11, v174, v10
	ds_bpermute_b32 v12, v174, v64
	;; [unrolled: 1-line block ×5, first 2 shown]
	s_wait_dscnt 0x8
	v_add_f32_e32 v39, v3, v40
	s_wait_dscnt 0x7
	v_dual_add_f32 v40, v5, v44 :: v_dual_cndmask_b32 v2, -v10, v10, s18
	s_wait_dscnt 0x6
	v_dual_add_f32 v42, v9, v46 :: v_dual_cndmask_b32 v3, -v64, v64, s18
	v_cndmask_b32_e64 v5, -v14, v14, s18
	ds_bpermute_b32 v9, v174, v66
	ds_bpermute_b32 v10, v174, v25
	;; [unrolled: 1-line block ×5, first 2 shown]
	s_wait_dscnt 0xa
	v_add_f32_e32 v41, v8, v45
	v_dual_cndmask_b32 v8, -v65, v65, s18 :: v_dual_cndmask_b32 v4, -v4, v4, s18
	ds_bpermute_b32 v57, v174, v133
	s_wait_dscnt 0x9
	v_dual_add_f32 v43, v2, v11 :: v_dual_add_f32 v44, v3, v12
	s_wait_dscnt 0x7
	v_dual_add_f32 v45, v5, v47 :: v_dual_add_f32 v46, v8, v48
	s_wait_dscnt 0x6
	v_dual_cndmask_b32 v2, -v66, v66, s18 :: v_dual_add_f32 v47, v4, v49
	v_dual_cndmask_b32 v4, -v67, v67, s18 :: v_dual_cndmask_b32 v3, -v25, v25, s18
	v_dual_cndmask_b32 v5, -v16, v16, s18 :: v_dual_cndmask_b32 v8, -v69, v69, s18
	ds_bpermute_b32 v11, v174, v15
	ds_bpermute_b32 v12, v174, v70
	;; [unrolled: 1-line block ×4, first 2 shown]
	s_wait_dscnt 0x6
	v_dual_add_f32 v52, v2, v9 :: v_dual_add_f32 v55, v5, v14
	v_dual_add_f32 v53, v3, v10 :: v_dual_add_f32 v54, v4, v13
	s_wait_dscnt 0x5
	v_dual_cndmask_b32 v2, -v15, v15, s18 :: v_dual_add_f32 v48, v8, v50
	v_cndmask_b32_e64 v5, -v71, v71, s18
	ds_bpermute_b32 v8, v174, v72
	ds_bpermute_b32 v9, v174, v20
	;; [unrolled: 1-line block ×5, first 2 shown]
	v_cndmask_b32_e64 v3, -v70, v70, s18
	v_dual_cndmask_b32 v4, -v6, v6, s18 :: v_dual_cndmask_b32 v6, -v133, v133, s18
	ds_bpermute_b32 v15, v174, v30
	s_wait_dscnt 0x0
	v_dual_add_f32 v50, v3, v12 :: v_dual_add_f32 v49, v2, v11
	v_dual_add_f32 v51, v4, v16 :: v_dual_add_f32 v56, v5, v25
	v_dual_cndmask_b32 v2, -v72, v72, s18 :: v_dual_add_f32 v57, v6, v57
	v_cndmask_b32_e64 v3, -v20, v20, s18
	v_dual_cndmask_b32 v4, -v136, v136, s18 :: v_dual_cndmask_b32 v5, -v21, v21, s18
	v_cndmask_b32_e64 v6, -v74, v74, s18
	ds_bpermute_b32 v11, v174, v22
	ds_bpermute_b32 v12, v174, v75
	;; [unrolled: 1-line block ×4, first 2 shown]
	v_dual_add_f32 v58, v2, v8 :: v_dual_add_f32 v64, v4, v10
	v_add_f32_e32 v59, v3, v9
	v_dual_add_f32 v65, v5, v13 :: v_dual_add_f32 v66, v6, v14
	ds_bpermute_b32 v8, v174, v77
	ds_bpermute_b32 v9, v174, v78
	;; [unrolled: 1-line block ×5, first 2 shown]
	v_dual_cndmask_b32 v2, -v22, v22, s18 :: v_dual_cndmask_b32 v3, -v75, v75, s18
	v_dual_cndmask_b32 v4, -v30, v30, s18 :: v_dual_cndmask_b32 v5, -v76, v76, s18
	v_cndmask_b32_e64 v6, -v23, v23, s18
	ds_bpermute_b32 v21, v174, v124
	s_wait_dscnt 0x8
	v_dual_add_f32 v67, v2, v11 :: v_dual_add_f32 v60, v3, v12
	s_wait_dscnt 0x7
	v_dual_add_f32 v62, v5, v16 :: v_dual_add_f32 v61, v4, v15
	s_wait_dscnt 0x6
	v_dual_add_f32 v63, v6, v20 :: v_dual_cndmask_b32 v2, -v77, v77, s18
	v_cndmask_b32_e64 v3, -v78, v78, s18
	v_dual_cndmask_b32 v4, -v138, v138, s18 :: v_dual_cndmask_b32 v5, -v7, v7, s18
	s_wait_dscnt 0x5
	s_delay_alu instid0(VALU_DEP_3)
	v_dual_cndmask_b32 v6, -v79, v79, s18 :: v_dual_add_f32 v68, v2, v8
	ds_bpermute_b32 v7, v174, v140
	ds_bpermute_b32 v11, v174, v80
	;; [unrolled: 1-line block ×5, first 2 shown]
	s_wait_dscnt 0x8
	v_dual_add_f32 v69, v3, v9 :: v_dual_add_f32 v70, v4, v10
	s_wait_dscnt 0x6
	v_dual_add_f32 v71, v5, v13 :: v_dual_add_f32 v72, v6, v14
	ds_bpermute_b32 v8, v174, v139
	ds_bpermute_b32 v9, v174, v18
	ds_bpermute_b32 v10, v174, v81
	ds_bpermute_b32 v13, v174, v88
	ds_bpermute_b32 v14, v174, v89
	v_dual_cndmask_b32 v2, -v140, v140, s18 :: v_dual_cndmask_b32 v4, -v17, v17, s18
	v_dual_cndmask_b32 v3, -v80, v80, s18 :: v_dual_cndmask_b32 v5, -v135, v135, s18
	v_cndmask_b32_e64 v6, -v137, v137, s18
	ds_bpermute_b32 v17, v174, v131
	s_wait_dscnt 0xa
	v_add_f32_e32 v73, v2, v7
	s_wait_dscnt 0x8
	v_dual_add_f32 v74, v3, v11 :: v_dual_add_f32 v75, v4, v12
	s_wait_dscnt 0x6
	v_dual_add_f32 v76, v5, v15 :: v_dual_add_f32 v77, v6, v16
	v_dual_cndmask_b32 v2, -v139, v139, s18 :: v_dual_cndmask_b32 v3, -v18, v18, s18
	v_dual_cndmask_b32 v4, -v81, v81, s18 :: v_dual_cndmask_b32 v5, -v88, v88, s18
	s_wait_dscnt 0x5
	s_delay_alu instid0(VALU_DEP_2)
	v_dual_cndmask_b32 v6, -v89, v89, s18 :: v_dual_add_f32 v78, v2, v8
	ds_bpermute_b32 v7, v174, v28
	ds_bpermute_b32 v11, v174, v144
	;; [unrolled: 1-line block ×5, first 2 shown]
	s_wait_dscnt 0x8
	v_dual_add_f32 v79, v3, v9 :: v_dual_add_f32 v80, v4, v10
	s_wait_dscnt 0x6
	v_dual_add_f32 v81, v5, v13 :: v_dual_add_f32 v82, v6, v14
	ds_bpermute_b32 v8, v174, v91
	ds_bpermute_b32 v9, v174, v92
	;; [unrolled: 1-line block ×5, first 2 shown]
	v_dual_cndmask_b32 v2, -v28, v28, s18 :: v_dual_cndmask_b32 v4, -v145, v145, s18
	v_dual_cndmask_b32 v3, -v144, v144, s18 :: v_dual_cndmask_b32 v5, -v90, v90, s18
	v_cndmask_b32_e64 v6, -v29, v29, s18
	ds_bpermute_b32 v18, v174, v165
	s_wait_dscnt 0xa
	v_add_f32_e32 v83, v2, v7
	s_wait_dscnt 0x8
	v_dual_add_f32 v118, v3, v11 :: v_dual_add_f32 v119, v4, v12
	s_wait_dscnt 0x6
	v_dual_add_f32 v120, v5, v15 :: v_dual_add_f32 v121, v6, v16
	v_dual_cndmask_b32 v2, -v91, v91, s18 :: v_dual_cndmask_b32 v3, -v92, v92, s18
	v_dual_cndmask_b32 v4, -v93, v93, s18 :: v_dual_cndmask_b32 v5, -v31, v31, s18
	v_cndmask_b32_e64 v6, -v94, v94, s18
	ds_bpermute_b32 v7, v174, v98
	ds_bpermute_b32 v11, v174, v142
	;; [unrolled: 1-line block ×5, first 2 shown]
	s_wait_dscnt 0x8
	v_dual_add_f32 v126, v2, v8 :: v_dual_add_f32 v128, v4, v10
	v_add_f32_e32 v127, v3, v9
	s_wait_dscnt 0x6
	v_dual_add_f32 v129, v5, v13 :: v_dual_add_f32 v132, v6, v14
	ds_bpermute_b32 v8, v174, v95
	ds_bpermute_b32 v9, v174, v24
	;; [unrolled: 1-line block ×5, first 2 shown]
	v_dual_cndmask_b32 v2, -v98, v98, s18 :: v_dual_cndmask_b32 v4, -v19, v19, s18
	v_dual_cndmask_b32 v3, -v142, v142, s18 :: v_dual_cndmask_b32 v5, -v143, v143, s18
	v_cndmask_b32_e64 v6, -v146, v146, s18
	s_wait_dscnt 0x9
	s_delay_alu instid0(VALU_DEP_3)
	v_add_f32_e32 v133, v2, v7
	v_cndmask_b32_e64 v2, -v95, v95, s18
	s_wait_dscnt 0x7
	v_dual_add_f32 v134, v3, v11 :: v_dual_add_f32 v135, v4, v12
	s_wait_dscnt 0x5
	v_dual_add_f32 v86, v5, v15 :: v_dual_add_f32 v87, v6, v16
	v_dual_cndmask_b32 v3, -v24, v24, s18 :: v_dual_cndmask_b32 v4, -v99, v99, s18
	v_dual_cndmask_b32 v5, -v100, v100, s18 :: v_dual_cndmask_b32 v6, -v102, v102, s18
	ds_bpermute_b32 v7, v174, v26
	ds_bpermute_b32 v11, v174, v106
	;; [unrolled: 1-line block ×5, first 2 shown]
	s_wait_dscnt 0x7
	v_dual_add_f32 v88, v2, v8 :: v_dual_add_f32 v90, v4, v10
	v_add_f32_e32 v89, v3, v9
	s_wait_dscnt 0x5
	v_dual_add_f32 v91, v5, v13 :: v_dual_add_f32 v92, v6, v14
	ds_bpermute_b32 v8, v174, v147
	ds_bpermute_b32 v9, v174, v108
	;; [unrolled: 1-line block ×5, first 2 shown]
	v_dual_cndmask_b32 v2, -v26, v26, s18 :: v_dual_cndmask_b32 v4, -v107, v107, s18
	v_dual_cndmask_b32 v3, -v106, v106, s18 :: v_dual_cndmask_b32 v5, -v141, v141, s18
	v_cndmask_b32_e64 v6, -v27, v27, s18
	s_wait_dscnt 0x9
	s_delay_alu instid0(VALU_DEP_3)
	v_add_f32_e32 v93, v2, v7
	s_wait_dscnt 0x7
	v_dual_cndmask_b32 v2, -v147, v147, s18 :: v_dual_add_f32 v95, v4, v12
	s_wait_dscnt 0x5
	v_dual_add_f32 v94, v3, v11 :: v_dual_add_f32 v97, v6, v16
	v_dual_add_f32 v96, v5, v15 :: v_dual_cndmask_b32 v6, -v104, v104, s18
	v_dual_cndmask_b32 v3, -v108, v108, s18 :: v_dual_cndmask_b32 v4, -v109, v109, s18
	s_wait_dscnt 0x4
	v_dual_cndmask_b32 v5, -v103, v103, s18 :: v_dual_add_f32 v102, v2, v8
	ds_bpermute_b32 v7, v174, v148
	ds_bpermute_b32 v11, v174, v110
	;; [unrolled: 1-line block ×5, first 2 shown]
	s_wait_dscnt 0x7
	v_dual_add_f32 v103, v3, v9 :: v_dual_add_f32 v104, v4, v10
	s_wait_dscnt 0x5
	v_dual_add_f32 v105, v5, v13 :: v_dual_add_f32 v98, v6, v14
	ds_bpermute_b32 v8, v174, v150
	ds_bpermute_b32 v9, v174, v113
	ds_bpermute_b32 v10, v174, v114
	ds_bpermute_b32 v13, v174, v151
	ds_bpermute_b32 v14, v174, v152
	v_dual_cndmask_b32 v2, -v148, v148, s18 :: v_dual_cndmask_b32 v3, -v110, v110, s18
	v_dual_cndmask_b32 v4, -v111, v111, s18 :: v_dual_cndmask_b32 v5, -v112, v112, s18
	;; [unrolled: 1-line block ×3, first 2 shown]
	s_wait_dscnt 0x9
	s_delay_alu instid0(VALU_DEP_3)
	v_add_f32_e32 v99, v2, v7
	s_wait_dscnt 0x7
	v_dual_add_f32 v100, v3, v11 :: v_dual_add_f32 v101, v4, v12
	s_wait_dscnt 0x5
	v_dual_add_f32 v106, v5, v15 :: v_dual_add_f32 v107, v6, v16
	v_dual_cndmask_b32 v2, -v150, v150, s18 :: v_dual_cndmask_b32 v3, -v113, v113, s18
	v_dual_cndmask_b32 v4, -v114, v114, s18 :: v_dual_cndmask_b32 v5, -v151, v151, s18
	v_cndmask_b32_e64 v6, -v152, v152, s18
	ds_bpermute_b32 v7, v174, v153
	ds_bpermute_b32 v11, v174, v115
	;; [unrolled: 1-line block ×5, first 2 shown]
	s_wait_dscnt 0x7
	v_dual_add_f32 v108, v2, v8 :: v_dual_add_f32 v110, v4, v10
	v_add_f32_e32 v109, v3, v9
	s_wait_dscnt 0x5
	v_dual_add_f32 v111, v5, v13 :: v_dual_add_f32 v112, v6, v14
	ds_bpermute_b32 v6, v174, v155
	ds_bpermute_b32 v8, v174, v156
	;; [unrolled: 1-line block ×5, first 2 shown]
	v_dual_cndmask_b32 v2, -v153, v153, s18 :: v_dual_cndmask_b32 v3, -v115, v115, s18
	v_dual_cndmask_b32 v4, -v116, v116, s18 :: v_dual_cndmask_b32 v5, -v117, v117, s18
	v_cndmask_b32_e64 v14, -v154, v154, s18
	s_wait_dscnt 0x9
	s_delay_alu instid0(VALU_DEP_3)
	v_add_f32_e32 v113, v2, v7
	s_wait_dscnt 0x7
	v_dual_add_f32 v114, v3, v11 :: v_dual_add_f32 v115, v4, v12
	s_wait_dscnt 0x5
	v_dual_add_f32 v116, v5, v15 :: v_dual_add_f32 v117, v14, v16
	v_dual_cndmask_b32 v2, -v155, v155, s18 :: v_dual_cndmask_b32 v3, -v156, v156, s18
	v_dual_cndmask_b32 v4, -v157, v157, s18 :: v_dual_cndmask_b32 v11, -v158, v158, s18
	ds_bpermute_b32 v5, v174, v160
	ds_bpermute_b32 v12, v174, v84
	;; [unrolled: 1-line block ×4, first 2 shown]
	s_wait_dscnt 0x8
	v_dual_cndmask_b32 v16, -v159, v159, s18 :: v_dual_add_f32 v6, v2, v6
	s_wait_dscnt 0x6
	v_dual_add_f32 v7, v3, v8 :: v_dual_add_f32 v8, v4, v9
	s_wait_dscnt 0x4
	s_delay_alu instid0(VALU_DEP_2)
	v_dual_add_f32 v9, v11, v10 :: v_dual_add_f32 v2, v16, v13
	ds_bpermute_b32 v11, v174, v163
	ds_bpermute_b32 v13, v174, v164
	;; [unrolled: 1-line block ×3, first 2 shown]
	v_dual_cndmask_b32 v3, -v160, v160, s18 :: v_dual_cndmask_b32 v10, -v161, v161, s18
	v_cndmask_b32_e64 v4, -v84, v84, s18
	ds_bpermute_b32 v20, v174, v166
	ds_bpermute_b32 v22, v174, v125
	v_dual_cndmask_b32 v23, -v131, v131, s18 :: v_dual_cndmask_b32 v24, -v165, v165, s18
	s_wait_dscnt 0x7
	v_dual_add_f32 v3, v3, v5 :: v_dual_add_f32 v4, v4, v12
	s_wait_dscnt 0x5
	v_dual_add_f32 v5, v10, v14 :: v_dual_add_f32 v10, v19, v15
	v_dual_cndmask_b32 v12, -v163, v163, s18 :: v_dual_cndmask_b32 v14, -v164, v164, s18
	v_cndmask_b32_e64 v15, -v85, v85, s18
	ds_bpermute_b32 v19, v174, v167
	ds_bpermute_b32 v25, v174, v170
	;; [unrolled: 1-line block ×3, first 2 shown]
	s_wait_dscnt 0x6
	v_dual_add_f32 v11, v12, v11 :: v_dual_add_f32 v12, v14, v13
	s_wait_dscnt 0x5
	v_dual_add_f32 v13, v15, v16 :: v_dual_cndmask_b32 v16, -v166, v166, s18
	v_dual_add_f32 v14, v23, v17 :: v_dual_add_f32 v15, v24, v18
	v_cndmask_b32_e64 v17, -v167, v167, s18
	ds_bpermute_b32 v23, v174, v168
	ds_bpermute_b32 v24, v174, v169
	;; [unrolled: 1-line block ×3, first 2 shown]
	s_wait_dscnt 0x7
	v_dual_add_f32 v16, v16, v20 :: v_dual_cndmask_b32 v20, -v125, v125, s18
	v_cndmask_b32_e64 v18, -v124, v124, s18
	ds_bpermute_b32 v28, v174, v172
	ds_bpermute_b32 v29, v174, v173
	;; [unrolled: 1-line block ×5, first 2 shown]
	s_wait_dscnt 0xa
	v_dual_add_f32 v17, v17, v19 :: v_dual_add_f32 v18, v18, v21
	v_add_f32_e32 v19, v20, v22
	v_dual_cndmask_b32 v20, -v168, v168, s18 :: v_dual_cndmask_b32 v21, -v169, v169, s18
	v_cndmask_b32_e64 v22, -v170, v170, s18
	ds_bpermute_b32 v85, v174, v178
	ds_bpermute_b32 v124, v174, v179
	v_cndmask_b32_e64 v125, -v176, v176, s18
	s_wait_dscnt 0x8
	v_dual_add_f32 v20, v20, v23 :: v_dual_add_f32 v21, v21, v24
	v_dual_cndmask_b32 v23, -v130, v130, s18 :: v_dual_cndmask_b32 v24, -v171, v171, s18
	v_dual_add_f32 v22, v22, v25 :: v_dual_cndmask_b32 v25, -v172, v172, s18
	s_delay_alu instid0(VALU_DEP_2) | instskip(SKIP_1) | instid1(VALU_DEP_3)
	v_dual_cndmask_b32 v136, -v181, v181, s18 :: v_dual_add_f32 v23, v23, v26
	s_wait_dscnt 0x7
	v_dual_add_f32 v24, v24, v27 :: v_dual_cndmask_b32 v26, -v173, v173, s18
	v_dual_cndmask_b32 v27, -v175, v175, s18 :: v_dual_cndmask_b32 v130, -v177, v177, s18
	s_wait_dscnt 0x6
	v_add_f32_e32 v25, v25, v28
	s_barrier_signal -1
	s_wait_dscnt 0x4
	v_dual_add_f32 v26, v26, v29 :: v_dual_add_f32 v27, v27, v30
	s_wait_dscnt 0x2
	v_dual_add_f32 v28, v125, v31 :: v_dual_add_f32 v29, v130, v84
	v_dual_cndmask_b32 v30, -v178, v178, s18 :: v_dual_bitop2_b32 v84, 7, v0 bitop3:0x40
	v_dual_cndmask_b32 v31, -v179, v179, s18 :: v_dual_lshrrev_b32 v125, 5, v0
	v_lshrrev_b32_e32 v130, 3, v0
	s_wait_dscnt 0x1
	s_delay_alu instid0(VALU_DEP_3)
	v_dual_add_f32 v30, v30, v85 :: v_dual_lshlrev_b32 v131, 5, v84
	ds_bpermute_b32 v85, v174, v180
	s_wait_dscnt 0x1
	v_add_f32_e32 v31, v31, v124
	s_barrier_wait -1
	v_bitop3_b32 v84, v131, v84, v130 bitop3:0x36
	ds_bpermute_b32 v131, v174, v181
	v_xor_b32_e32 v124, v125, v0
	s_wait_dscnt 0x0
	s_wait_kmcnt 0x0
	s_mov_b32 s21, s20
	s_delay_alu instid0(VALU_DEP_1)
	v_lshl_add_u32 v130, v124, 4, 0
	v_lshl_add_u32 v124, v84, 4, 0
	ds_store_b128 v130, v[32:35]
	ds_store_b128 v130, v[36:39] offset:4096
	ds_store_b128 v130, v[40:43] offset:8192
	;; [unrolled: 1-line block ×7, first 2 shown]
	s_wait_dscnt 0x0
	s_barrier_signal -1
	s_barrier_wait -1
	ds_load_b128 v[44:47], v124
	v_cndmask_b32_e64 v125, -v180, v180, s18
	s_mul_u64 s[18:19], s[26:27], s[28:29]
	v_add_f32_e32 v33, v136, v131
	ds_load_b128 v[48:51], v124 offset:4096
	ds_load_b128 v[52:55], v124 offset:8192
	;; [unrolled: 1-line block ×7, first 2 shown]
	s_wait_dscnt 0x0
	s_barrier_signal -1
	s_barrier_wait -1
	ds_store_b128 v130, v[60:63]
	ds_store_b128 v130, v[68:71] offset:4096
	ds_store_b128 v130, v[72:75] offset:8192
	;; [unrolled: 1-line block ×7, first 2 shown]
	s_wait_dscnt 0x0
	s_barrier_signal -1
	s_barrier_wait -1
	ds_load_b128 v[38:41], v124 offset:20480
	ds_bpermute_b32 v70, v1, v48
	ds_bpermute_b32 v60, v1, v44
	;; [unrolled: 1-line block ×4, first 2 shown]
	v_dual_cndmask_b32 v63, -v44, v44, s1 :: v_dual_cndmask_b32 v46, -v46, v46, s1
	v_cndmask_b32_e64 v68, -v45, v45, s1
	ds_bpermute_b32 v69, v1, v47
	ds_bpermute_b32 v71, v1, v49
	;; [unrolled: 1-line block ×5, first 2 shown]
	v_dual_cndmask_b32 v47, -v47, v47, s1 :: v_dual_cndmask_b32 v48, -v48, v48, s1
	v_dual_cndmask_b32 v49, -v49, v49, s1 :: v_dual_cndmask_b32 v50, -v50, v50, s1
	v_cndmask_b32_e64 v51, -v51, v51, s1
	ds_bpermute_b32 v74, v1, v55
	v_dual_cndmask_b32 v55, -v55, v55, s1 :: v_dual_cndmask_b32 v56, -v56, v56, s1
	s_wait_dscnt 0x8
	v_dual_add_f32 v48, v48, v70 :: v_dual_add_f32 v60, v63, v60
	s_wait_dscnt 0x6
	v_dual_add_f32 v61, v68, v61 :: v_dual_add_f32 v46, v46, v62
	ds_bpermute_b32 v62, v1, v52
	ds_bpermute_b32 v63, v1, v53
	;; [unrolled: 1-line block ×3, first 2 shown]
	s_wait_dscnt 0x7
	v_dual_add_f32 v47, v47, v69 :: v_dual_add_f32 v49, v49, v71
	s_wait_dscnt 0x5
	v_dual_add_f32 v50, v50, v72 :: v_dual_add_f32 v51, v51, v73
	v_dual_cndmask_b32 v52, -v52, v52, s1 :: v_dual_cndmask_b32 v53, -v53, v53, s1
	v_cndmask_b32_e64 v54, -v54, v54, s1
	ds_bpermute_b32 v69, v1, v57
	ds_bpermute_b32 v70, v1, v58
	;; [unrolled: 1-line block ×5, first 2 shown]
	s_wait_dscnt 0x9
	v_dual_add_f32 v56, v56, v75 :: v_dual_cndmask_b32 v57, -v57, v57, s1
	ds_bpermute_b32 v75, v1, v138
	ds_load_b128 v[42:45], v124 offset:24576
	ds_load_b128 v[34:37], v124 offset:28672
	s_wait_dscnt 0xb
	v_add_f32_e32 v55, v55, v74
	s_wait_dscnt 0x9
	v_dual_add_f32 v52, v52, v62 :: v_dual_add_f32 v53, v53, v63
	s_wait_dscnt 0x8
	v_add_f32_e32 v54, v54, v68
	ds_bpermute_b32 v63, v1, v66
	ds_bpermute_b32 v68, v1, v136
	v_dual_cndmask_b32 v58, -v58, v58, s1 :: v_dual_cndmask_b32 v59, -v59, v59, s1
	v_dual_cndmask_b32 v62, -v64, v64, s1 :: v_dual_cndmask_b32 v65, -v65, v65, s1
	ds_bpermute_b32 v64, v1, v67
	ds_bpermute_b32 v74, v1, v137
	s_wait_dscnt 0xa
	v_dual_add_f32 v57, v57, v69 :: v_dual_add_f32 v58, v58, v70
	s_wait_dscnt 0x8
	v_dual_add_f32 v59, v59, v71 :: v_dual_add_f32 v62, v62, v72
	s_wait_dscnt 0x7
	v_dual_add_f32 v65, v65, v73 :: v_dual_cndmask_b32 v66, -v66, v66, s1
	v_dual_cndmask_b32 v67, -v67, v67, s1 :: v_dual_cndmask_b32 v69, -v136, v136, s1
	ds_bpermute_b32 v70, v1, v139
	ds_bpermute_b32 v71, v1, v140
	;; [unrolled: 1-line block ×4, first 2 shown]
	v_dual_cndmask_b32 v76, -v137, v137, s1 :: v_dual_cndmask_b32 v77, -v138, v138, s1
	s_wait_dscnt 0x6
	v_dual_add_f32 v63, v66, v63 :: v_dual_add_f32 v66, v69, v68
	ds_bpermute_b32 v78, v1, v144
	ds_bpermute_b32 v79, v1, v145
	v_add_f32_e32 v68, v77, v75
	ds_bpermute_b32 v77, v1, v143
	ds_bpermute_b32 v80, v1, v146
	;; [unrolled: 1-line block ×3, first 2 shown]
	v_add_f32_e32 v32, v125, v85
	ds_bpermute_b32 v83, v1, v38
	ds_bpermute_b32 v84, v1, v39
	;; [unrolled: 1-line block ×5, first 2 shown]
	s_wait_dscnt 0xe
	v_dual_add_f32 v64, v67, v64 :: v_dual_add_f32 v67, v76, v74
	v_dual_cndmask_b32 v69, -v139, v139, s1 :: v_dual_cndmask_b32 v75, -v141, v141, s1
	v_dual_cndmask_b32 v74, -v140, v140, s1 :: v_dual_cndmask_b32 v76, -v142, v142, s1
	s_wait_dscnt 0xd
	s_delay_alu instid0(VALU_DEP_2)
	v_dual_cndmask_b32 v82, -v147, v147, s1 :: v_dual_add_f32 v69, v69, v70
	v_dual_cndmask_b32 v38, -v38, v38, s1 :: v_dual_cndmask_b32 v40, -v40, v40, s1
	s_wait_dscnt 0xb
	v_dual_add_f32 v70, v74, v71 :: v_dual_add_f32 v71, v75, v72
	s_wait_dscnt 0xa
	v_dual_add_f32 v72, v76, v73 :: v_dual_cndmask_b32 v73, -v143, v143, s1
	v_dual_cndmask_b32 v74, -v144, v144, s1 :: v_dual_cndmask_b32 v75, -v145, v145, s1
	v_dual_cndmask_b32 v76, -v146, v146, s1 :: v_dual_cndmask_b32 v39, -v39, v39, s1
	s_wait_dscnt 0x7
	s_delay_alu instid0(VALU_DEP_2) | instskip(SKIP_1) | instid1(VALU_DEP_2)
	v_dual_add_f32 v73, v73, v77 :: v_dual_add_f32 v74, v74, v78
	s_wait_dscnt 0x6
	v_dual_add_f32 v75, v75, v79 :: v_dual_add_f32 v76, v76, v80
	s_wait_dscnt 0x5
	v_add_f32_e32 v77, v82, v81
	v_dual_cndmask_b32 v41, -v41, v41, s1 :: v_dual_cndmask_b32 v42, -v42, v42, s1
	ds_bpermute_b32 v78, v1, v43
	ds_bpermute_b32 v79, v1, v44
	;; [unrolled: 1-line block ×5, first 2 shown]
	s_wait_dscnt 0x8
	v_dual_add_f32 v38, v38, v83 :: v_dual_add_f32 v39, v39, v84
	s_wait_dscnt 0x5
	v_dual_add_f32 v40, v40, v85 :: v_dual_add_f32 v42, v42, v126
	v_dual_add_f32 v41, v41, v125 :: v_dual_cndmask_b32 v43, -v43, v43, s1
	ds_bpermute_b32 v83, v1, v36
	ds_bpermute_b32 v84, v1, v37
	;; [unrolled: 1-line block ×5, first 2 shown]
	v_dual_cndmask_b32 v44, -v44, v44, s1 :: v_dual_cndmask_b32 v45, -v45, v45, s1
	v_dual_cndmask_b32 v34, -v34, v34, s1 :: v_dual_cndmask_b32 v35, -v35, v35, s1
	s_wait_dscnt 0x8
	s_delay_alu instid0(VALU_DEP_2) | instskip(SKIP_1) | instid1(VALU_DEP_2)
	v_dual_add_f32 v43, v43, v78 :: v_dual_add_f32 v44, v44, v79
	s_wait_dscnt 0x6
	v_dual_add_f32 v45, v45, v80 :: v_dual_add_f32 v34, v34, v81
	s_wait_dscnt 0x5
	v_dual_add_f32 v35, v35, v82 :: v_dual_cndmask_b32 v36, -v36, v36, s1
	v_dual_cndmask_b32 v37, -v37, v37, s1 :: v_dual_cndmask_b32 v60, -v60, v60, s16
	v_dual_cndmask_b32 v61, -v61, v61, s16 :: v_dual_cndmask_b32 v46, -v46, v46, s16
	ds_bpermute_b32 v78, v122, v47
	ds_bpermute_b32 v79, v122, v48
	ds_bpermute_b32 v80, v122, v49
	ds_bpermute_b32 v81, v122, v50
	ds_bpermute_b32 v82, v122, v51
	s_wait_dscnt 0x8
	v_dual_add_f32 v36, v36, v83 :: v_dual_add_f32 v37, v37, v84
	s_wait_dscnt 0x5
	v_dual_add_f32 v60, v60, v85 :: v_dual_add_f32 v46, v46, v126
	v_dual_add_f32 v61, v61, v125 :: v_dual_cndmask_b32 v47, -v47, v47, s16
	ds_bpermute_b32 v83, v122, v52
	ds_bpermute_b32 v84, v122, v53
	;; [unrolled: 1-line block ×5, first 2 shown]
	v_dual_cndmask_b32 v48, -v48, v48, s16 :: v_dual_cndmask_b32 v49, -v49, v49, s16
	v_dual_cndmask_b32 v50, -v50, v50, s16 :: v_dual_cndmask_b32 v51, -v51, v51, s16
	s_wait_dscnt 0x8
	s_delay_alu instid0(VALU_DEP_2) | instskip(SKIP_1) | instid1(VALU_DEP_2)
	v_dual_add_f32 v47, v47, v78 :: v_dual_add_f32 v48, v48, v79
	s_wait_dscnt 0x6
	v_dual_add_f32 v49, v49, v80 :: v_dual_add_f32 v50, v50, v81
	s_wait_dscnt 0x5
	v_dual_add_f32 v51, v51, v82 :: v_dual_cndmask_b32 v52, -v52, v52, s16
	v_dual_cndmask_b32 v53, -v53, v53, s16 :: v_dual_cndmask_b32 v54, -v54, v54, s16
	v_dual_cndmask_b32 v55, -v55, v55, s16 :: v_dual_cndmask_b32 v56, -v56, v56, s16
	ds_bpermute_b32 v78, v122, v57
	ds_bpermute_b32 v79, v122, v58
	;; [unrolled: 1-line block ×5, first 2 shown]
	s_wait_dscnt 0x8
	v_dual_add_f32 v52, v52, v83 :: v_dual_add_f32 v53, v53, v84
	s_wait_dscnt 0x5
	v_dual_add_f32 v54, v54, v85 :: v_dual_add_f32 v56, v56, v126
	v_dual_add_f32 v55, v55, v125 :: v_dual_cndmask_b32 v58, -v58, v58, s16
	ds_bpermute_b32 v83, v122, v63
	ds_bpermute_b32 v84, v122, v64
	;; [unrolled: 1-line block ×5, first 2 shown]
	v_dual_cndmask_b32 v57, -v57, v57, s16 :: v_dual_cndmask_b32 v59, -v59, v59, s16
	v_dual_cndmask_b32 v62, -v62, v62, s16 :: v_dual_cndmask_b32 v65, -v65, v65, s16
	s_wait_dscnt 0x9
	s_delay_alu instid0(VALU_DEP_2)
	v_dual_cndmask_b32 v63, -v63, v63, s16 :: v_dual_add_f32 v57, v57, v78
	s_wait_dscnt 0x7
	v_dual_add_f32 v58, v58, v79 :: v_dual_add_f32 v59, v59, v80
	s_wait_dscnt 0x5
	v_dual_add_f32 v62, v62, v81 :: v_dual_add_f32 v65, v65, v82
	v_dual_cndmask_b32 v64, -v64, v64, s16 :: v_dual_cndmask_b32 v66, -v66, v66, s16
	v_dual_cndmask_b32 v67, -v67, v67, s16 :: v_dual_cndmask_b32 v68, -v68, v68, s16
	ds_bpermute_b32 v78, v122, v69
	ds_bpermute_b32 v79, v122, v70
	;; [unrolled: 1-line block ×5, first 2 shown]
	s_wait_dscnt 0x8
	v_dual_add_f32 v63, v63, v83 :: v_dual_add_f32 v64, v64, v84
	s_wait_dscnt 0x5
	v_dual_add_f32 v66, v66, v85 :: v_dual_add_f32 v68, v68, v126
	v_dual_add_f32 v67, v67, v125 :: v_dual_cndmask_b32 v70, -v70, v70, s16
	ds_bpermute_b32 v83, v122, v74
	ds_bpermute_b32 v84, v122, v75
	;; [unrolled: 1-line block ×5, first 2 shown]
	v_dual_cndmask_b32 v69, -v69, v69, s16 :: v_dual_cndmask_b32 v71, -v71, v71, s16
	v_dual_cndmask_b32 v72, -v72, v72, s16 :: v_dual_cndmask_b32 v73, -v73, v73, s16
	;; [unrolled: 1-line block ×3, first 2 shown]
	s_wait_dscnt 0x8
	s_delay_alu instid0(VALU_DEP_3)
	v_dual_add_f32 v69, v69, v78 :: v_dual_add_f32 v70, v70, v79
	s_wait_dscnt 0x6
	v_dual_add_f32 v71, v71, v80 :: v_dual_add_f32 v72, v72, v81
	s_wait_dscnt 0x5
	v_dual_add_f32 v73, v73, v82 :: v_dual_cndmask_b32 v75, -v75, v75, s16
	v_dual_cndmask_b32 v77, -v77, v77, s16 :: v_dual_cndmask_b32 v38, -v38, v38, s16
	ds_bpermute_b32 v78, v122, v39
	ds_bpermute_b32 v79, v122, v40
	;; [unrolled: 1-line block ×5, first 2 shown]
	s_wait_dscnt 0x8
	v_dual_add_f32 v74, v74, v83 :: v_dual_add_f32 v83, v75, v84
	s_wait_dscnt 0x7
	v_add_f32_e32 v84, v76, v85
	s_wait_dscnt 0x5
	v_dual_add_f32 v85, v77, v125 :: v_dual_add_f32 v125, v38, v126
	v_dual_cndmask_b32 v38, -v39, v39, s16 :: v_dual_cndmask_b32 v39, -v40, v40, s16
	v_dual_cndmask_b32 v40, -v41, v41, s16 :: v_dual_cndmask_b32 v41, -v42, v42, s16
	v_cndmask_b32_e64 v42, -v43, v43, s16
	ds_bpermute_b32 v43, v122, v44
	ds_bpermute_b32 v75, v122, v45
	;; [unrolled: 1-line block ×5, first 2 shown]
	s_wait_dscnt 0x8
	v_dual_add_f32 v78, v38, v78 :: v_dual_add_f32 v79, v39, v79
	s_wait_dscnt 0x6
	v_dual_add_f32 v80, v40, v80 :: v_dual_add_f32 v81, v41, v81
	s_wait_dscnt 0x5
	v_dual_add_f32 v82, v42, v82 :: v_dual_cndmask_b32 v38, -v44, v44, s16
	v_dual_cndmask_b32 v39, -v45, v45, s16 :: v_dual_cndmask_b32 v34, -v34, v34, s16
	v_dual_cndmask_b32 v35, -v35, v35, s16 :: v_dual_cndmask_b32 v36, -v36, v36, s16
	ds_bpermute_b32 v40, v122, v37
	ds_bpermute_b32 v41, v123, v60
	;; [unrolled: 1-line block ×5, first 2 shown]
	s_wait_dscnt 0x9
	v_add_f32_e32 v127, v38, v43
	s_wait_dscnt 0x7
	v_dual_add_f32 v128, v39, v75 :: v_dual_add_f32 v129, v34, v76
	s_wait_dscnt 0x5
	v_dual_add_f32 v131, v35, v77 :: v_dual_add_f32 v132, v36, v126
	v_dual_cndmask_b32 v34, -v37, v37, s16 :: v_dual_cndmask_b32 v35, -v60, v60, s17
	v_dual_cndmask_b32 v36, -v61, v61, s17 :: v_dual_cndmask_b32 v37, -v46, v46, s17
	v_cndmask_b32_e64 v38, -v47, v47, s17
	ds_bpermute_b32 v39, v123, v48
	ds_bpermute_b32 v43, v123, v49
	;; [unrolled: 1-line block ×5, first 2 shown]
	s_wait_dscnt 0x8
	v_dual_add_f32 v136, v34, v40 :: v_dual_add_f32 v34, v35, v41
	s_wait_dscnt 0x6
	v_dual_add_f32 v35, v36, v42 :: v_dual_add_f32 v36, v37, v44
	s_wait_dscnt 0x5
	v_dual_add_f32 v37, v38, v45 :: v_dual_cndmask_b32 v38, -v48, v48, s17
	v_dual_cndmask_b32 v40, -v49, v49, s17 :: v_dual_cndmask_b32 v41, -v50, v50, s17
	v_dual_cndmask_b32 v45, -v51, v51, s17 :: v_dual_cndmask_b32 v48, -v52, v52, s17
	ds_bpermute_b32 v49, v123, v53
	ds_bpermute_b32 v50, v123, v54
	;; [unrolled: 1-line block ×5, first 2 shown]
	s_wait_dscnt 0x9
	v_add_f32_e32 v42, v38, v39
	s_wait_dscnt 0x8
	v_dual_add_f32 v43, v40, v43 :: v_dual_cndmask_b32 v39, -v53, v53, s17
	s_wait_dscnt 0x7
	v_add_f32_e32 v44, v41, v46
	s_wait_dscnt 0x5
	v_dual_add_f32 v45, v45, v47 :: v_dual_add_f32 v38, v48, v60
	v_dual_cndmask_b32 v40, -v54, v54, s17 :: v_dual_cndmask_b32 v41, -v55, v55, s17
	ds_bpermute_b32 v48, v123, v58
	ds_bpermute_b32 v55, v123, v65
	v_dual_cndmask_b32 v46, -v56, v56, s17 :: v_dual_cndmask_b32 v47, -v57, v57, s17
	ds_bpermute_b32 v54, v123, v62
	ds_bpermute_b32 v56, v123, v63
	;; [unrolled: 1-line block ×3, first 2 shown]
	s_wait_dscnt 0x8
	v_dual_add_f32 v39, v39, v49 :: v_dual_add_f32 v40, v40, v50
	s_wait_dscnt 0x6
	v_dual_add_f32 v41, v41, v51 :: v_dual_add_f32 v50, v46, v52
	s_wait_dscnt 0x5
	v_dual_add_f32 v51, v47, v61 :: v_dual_cndmask_b32 v46, -v58, v58, s17
	v_dual_cndmask_b32 v57, -v65, v65, s17 :: v_dual_cndmask_b32 v60, -v63, v63, s17
	ds_bpermute_b32 v63, v123, v67
	ds_bpermute_b32 v65, v123, v68
	;; [unrolled: 1-line block ×3, first 2 shown]
	v_dual_cndmask_b32 v47, -v59, v59, s17 :: v_dual_cndmask_b32 v49, -v62, v62, s17
	ds_bpermute_b32 v61, v123, v64
	ds_bpermute_b32 v62, v123, v66
	s_wait_dscnt 0x8
	v_dual_add_f32 v52, v46, v48 :: v_dual_add_f32 v59, v57, v55
	v_cndmask_b32_e64 v46, -v64, v64, s17
	ds_bpermute_b32 v57, v123, v72
	ds_bpermute_b32 v64, v123, v73
	s_wait_dscnt 0x8
	v_dual_add_f32 v58, v49, v54 :: v_dual_add_f32 v60, v60, v56
	ds_bpermute_b32 v55, v123, v70
	ds_bpermute_b32 v56, v123, v71
	s_wait_dscnt 0x9
	v_dual_add_f32 v53, v47, v53 :: v_dual_cndmask_b32 v47, -v66, v66, s17
	v_dual_cndmask_b32 v48, -v67, v67, s17 :: v_dual_cndmask_b32 v49, -v68, v68, s17
	v_cndmask_b32_e64 v54, -v69, v69, s17
	ds_bpermute_b32 v126, v123, v74
	ds_bpermute_b32 v133, v123, v125
	s_wait_dscnt 0x9
	v_dual_add_f32 v67, v48, v63 :: v_dual_add_f32 v68, v49, v65
	s_wait_dscnt 0x8
	v_dual_add_f32 v69, v54, v75 :: v_dual_cndmask_b32 v48, -v72, v72, s17
	v_dual_cndmask_b32 v49, -v73, v73, s17 :: v_dual_cndmask_b32 v54, -v74, v74, s17
	s_wait_dscnt 0x6
	v_dual_add_f32 v61, v46, v61 :: v_dual_add_f32 v66, v47, v62
	v_dual_cndmask_b32 v46, -v70, v70, s17 :: v_dual_cndmask_b32 v47, -v71, v71, s17
	ds_bpermute_b32 v71, v123, v83
	ds_bpermute_b32 v72, v123, v84
	;; [unrolled: 1-line block ×4, first 2 shown]
	s_wait_dscnt 0x8
	v_dual_add_f32 v76, v48, v57 :: v_dual_add_f32 v77, v49, v64
	ds_load_b128 v[62:65], v124
	s_wait_dscnt 0x7
	v_dual_add_f32 v74, v46, v55 :: v_dual_add_f32 v75, v47, v56
	v_cndmask_b32_e64 v47, -v84, v84, s17
	ds_bpermute_b32 v48, v123, v79
	ds_bpermute_b32 v55, v123, v81
	;; [unrolled: 1-line block ×3, first 2 shown]
	s_wait_dscnt 0x9
	v_dual_add_f32 v70, v54, v126 :: v_dual_cndmask_b32 v46, -v83, v83, s17
	ds_bpermute_b32 v49, v123, v80
	v_cndmask_b32_e64 v54, -v85, v85, s17
	v_dual_cndmask_b32 v56, -v125, v125, s17 :: v_dual_cndmask_b32 v57, -v78, v78, s17
	ds_bpermute_b32 v126, v123, v128
	s_wait_dscnt 0x8
	v_dual_add_f32 v71, v46, v71 :: v_dual_add_f32 v72, v47, v72
	s_wait_dscnt 0x6
	v_dual_add_f32 v73, v54, v73 :: v_dual_add_f32 v47, v57, v134
	v_dual_add_f32 v46, v56, v133 :: v_dual_cndmask_b32 v54, -v79, v79, s17
	v_dual_cndmask_b32 v56, -v80, v80, s17 :: v_dual_cndmask_b32 v57, -v81, v81, s17
	ds_bpermute_b32 v125, v123, v127
	ds_bpermute_b32 v133, v123, v129
	v_cndmask_b32_e64 v85, -v82, v82, s17
	ds_load_b128 v[78:81], v124 offset:4096
	s_wait_dscnt 0x8
	ds_bpermute_b32 v82, v1, v62
	ds_bpermute_b32 v83, v1, v63
	ds_bpermute_b32 v138, v123, v131
	s_wait_dscnt 0x7
	v_dual_add_f32 v48, v54, v48 :: v_dual_add_f32 v49, v56, v49
	v_add_f32_e32 v54, v57, v55
	v_dual_add_f32 v55, v85, v84 :: v_dual_cndmask_b32 v56, -v127, v127, s17
	ds_bpermute_b32 v84, v1, v64
	ds_bpermute_b32 v85, v1, v65
	v_dual_cndmask_b32 v57, -v128, v128, s17 :: v_dual_cndmask_b32 v128, -v129, v129, s17
	ds_bpermute_b32 v139, v123, v132
	v_cndmask_b32_e64 v127, -v63, v63, s1
	s_wait_dscnt 0x9
	v_dual_cndmask_b32 v131, -v131, v131, s17 :: v_dual_add_f32 v57, v57, v126
	s_wait_dscnt 0x7
	v_dual_cndmask_b32 v126, -v62, v62, s1 :: v_dual_add_f32 v62, v128, v133
	ds_bpermute_b32 v140, v123, v136
	v_add_f32_e32 v56, v56, v125
	v_dual_cndmask_b32 v125, -v132, v132, s17 :: v_dual_cndmask_b32 v65, -v65, v65, s1
	s_wait_dscnt 0x4
	v_dual_cndmask_b32 v64, -v64, v64, s1 :: v_dual_add_f32 v63, v131, v138
	v_pk_add_f32 v[126:127], v[126:127], v[82:83]
	ds_bpermute_b32 v128, v1, v78
	ds_bpermute_b32 v129, v1, v79
	;; [unrolled: 1-line block ×6, first 2 shown]
	v_cndmask_b32_e64 v141, -v136, v136, s17
	s_wait_dscnt 0x8
	v_pk_add_f32 v[136:137], v[64:65], v[84:85]
	ds_load_b128 v[82:85], v124 offset:8192
	s_wait_dscnt 0x8
	v_add_f32_e32 v64, v125, v139
	v_dual_cndmask_b32 v79, -v79, v79, s1 :: v_dual_cndmask_b32 v78, -v78, v78, s1
	v_cndmask_b32_e64 v81, -v81, v81, s1
	ds_bpermute_b32 v138, v122, v136
	ds_bpermute_b32 v139, v122, v137
	s_wait_dscnt 0x9
	v_add_f32_e32 v65, v141, v140
	v_dual_cndmask_b32 v80, -v80, v80, s1 :: v_dual_cndmask_b32 v127, -v127, v127, s16
	v_dual_cndmask_b32 v126, -v126, v126, s16 :: v_dual_cndmask_b32 v137, -v137, v137, s16
	v_cndmask_b32_e64 v136, -v136, v136, s16
	s_wait_dscnt 0x7
	v_pk_add_f32 v[78:79], v[78:79], v[128:129]
	ds_load_b128 v[118:121], v124 offset:16384
	s_wait_dscnt 0x6
	v_pk_add_f32 v[80:81], v[80:81], v[132:133]
	s_wait_dscnt 0x4
	v_pk_add_f32 v[132:133], v[126:127], v[134:135]
	ds_load_b128 v[126:129], v124 offset:12288
	ds_bpermute_b32 v134, v122, v78
	s_wait_dscnt 0x5
	ds_bpermute_b32 v142, v1, v82
	ds_bpermute_b32 v143, v1, v83
	;; [unrolled: 1-line block ×5, first 2 shown]
	v_dual_cndmask_b32 v83, -v83, v83, s1 :: v_dual_cndmask_b32 v82, -v82, v82, s1
	s_wait_dscnt 0x8
	v_pk_add_f32 v[136:137], v[136:137], v[138:139]
	ds_bpermute_b32 v138, v1, v84
	ds_bpermute_b32 v139, v1, v85
	v_dual_cndmask_b32 v80, -v80, v80, s16 :: v_dual_cndmask_b32 v85, -v85, v85, s1
	ds_bpermute_b32 v146, v123, v136
	ds_bpermute_b32 v147, v123, v137
	v_cndmask_b32_e64 v84, -v84, v84, s1
	ds_bpermute_b32 v145, v123, v133
	v_dual_cndmask_b32 v136, -v136, v136, s17 :: v_dual_cndmask_b32 v79, -v79, v79, s16
	v_dual_cndmask_b32 v78, -v78, v78, s16 :: v_dual_cndmask_b32 v81, -v81, v81, s16
	v_cndmask_b32_e64 v133, -v133, v133, s17
	s_wait_dscnt 0x8
	v_pk_add_f32 v[82:83], v[82:83], v[142:143]
	ds_bpermute_b32 v144, v123, v132
	s_wait_dscnt 0x8
	v_pk_add_f32 v[78:79], v[78:79], v[134:135]
	s_wait_dscnt 0x6
	v_pk_add_f32 v[134:135], v[80:81], v[140:141]
	ds_bpermute_b32 v150, v1, v128
	ds_bpermute_b32 v151, v1, v129
	v_cndmask_b32_e64 v137, -v137, v137, s17
	ds_bpermute_b32 v140, v123, v78
	s_wait_dscnt 0x7
	v_pk_add_f32 v[84:85], v[84:85], v[138:139]
	ds_bpermute_b32 v138, v122, v82
	ds_bpermute_b32 v139, v122, v83
	;; [unrolled: 1-line block ×7, first 2 shown]
	v_cndmask_b32_e64 v132, -v132, v132, s17
	s_wait_dscnt 0xc
	v_pk_add_f32 v[80:81], v[136:137], v[146:147]
	v_dual_cndmask_b32 v137, -v79, v79, s17 :: v_dual_cndmask_b32 v136, -v78, v78, s17
	v_dual_cndmask_b32 v79, -v83, v83, s16 :: v_dual_cndmask_b32 v78, -v82, v82, s16
	v_cndmask_b32_e64 v83, -v135, v135, s17
	ds_bpermute_b32 v146, v1, v126
	ds_bpermute_b32 v147, v1, v127
	v_dual_cndmask_b32 v82, -v134, v134, s17 :: v_dual_cndmask_b32 v135, -v85, v85, s16
	v_dual_cndmask_b32 v134, -v84, v84, s16 :: v_dual_cndmask_b32 v127, -v127, v127, s1
	;; [unrolled: 1-line block ×3, first 2 shown]
	s_wait_dscnt 0x7
	v_pk_add_f32 v[138:139], v[78:79], v[138:139]
	v_cndmask_b32_e64 v128, -v128, v128, s1
	v_pk_add_f32 v[78:79], v[132:133], v[144:145]
	s_wait_dscnt 0x3
	v_pk_add_f32 v[132:133], v[134:135], v[148:149]
	v_pk_add_f32 v[84:85], v[82:83], v[142:143]
	ds_bpermute_b32 v135, v123, v139
	v_cndmask_b32_e64 v139, -v139, v139, s17
	v_pk_add_f32 v[128:129], v[128:129], v[150:151]
	ds_bpermute_b32 v144, v1, v118
	ds_bpermute_b32 v145, v1, v119
	s_wait_dscnt 0x5
	v_pk_add_f32 v[82:83], v[136:137], v[140:141]
	s_wait_dscnt 0x0
	ds_bpermute_b32 v142, v122, v128
	ds_bpermute_b32 v143, v122, v129
	v_pk_add_f32 v[126:127], v[126:127], v[146:147]
	ds_bpermute_b32 v146, v1, v120
	ds_bpermute_b32 v147, v1, v121
	s_barrier_signal -1
	s_barrier_wait -1
	ds_bpermute_b32 v140, v122, v126
	ds_bpermute_b32 v141, v122, v127
	s_wait_dscnt 0x0
	ds_store_b128 v130, v[86:89]
	ds_store_b128 v130, v[90:93] offset:4096
	ds_store_b128 v130, v[94:97] offset:8192
	;; [unrolled: 1-line block ×7, first 2 shown]
	s_wait_dscnt 0x0
	s_barrier_signal -1
	s_barrier_wait -1
	ds_load_b128 v[94:97], v124
	ds_load_b128 v[98:101], v124 offset:4096
	v_dual_cndmask_b32 v129, -v129, v129, s16 :: v_dual_cndmask_b32 v128, -v128, v128, s16
	v_dual_cndmask_b32 v91, -v119, v119, s1 :: v_dual_cndmask_b32 v90, -v118, v118, s1
	;; [unrolled: 1-line block ×3, first 2 shown]
	s_delay_alu instid0(VALU_DEP_3) | instskip(SKIP_1) | instid1(VALU_DEP_4)
	v_pk_add_f32 v[88:89], v[128:129], v[142:143]
	v_dual_cndmask_b32 v87, -v127, v127, s16 :: v_dual_cndmask_b32 v86, -v126, v126, s16
	v_pk_add_f32 v[104:105], v[90:91], v[144:145]
	s_delay_alu instid0(VALU_DEP_4)
	v_pk_add_f32 v[106:107], v[92:93], v[146:147]
	ds_bpermute_b32 v102, v123, v88
	ds_bpermute_b32 v103, v123, v89
	v_pk_add_f32 v[86:87], v[86:87], v[140:141]
	ds_bpermute_b32 v110, v122, v104
	ds_bpermute_b32 v112, v122, v106
	;; [unrolled: 1-line block ×4, first 2 shown]
	s_wait_dscnt 0x7
	ds_bpermute_b32 v114, v1, v94
	ds_bpermute_b32 v115, v1, v95
	;; [unrolled: 1-line block ×7, first 2 shown]
	v_dual_cndmask_b32 v132, -v132, v132, s17 :: v_dual_cndmask_b32 v89, -v89, v89, s17
	v_dual_cndmask_b32 v88, -v88, v88, s17 :: v_dual_cndmask_b32 v87, -v87, v87, s17
	;; [unrolled: 1-line block ×3, first 2 shown]
	v_cndmask_b32_e64 v106, -v106, v106, s16
	s_wait_dscnt 0xb
	s_delay_alu instid0(VALU_DEP_3)
	v_pk_add_f32 v[88:89], v[88:89], v[102:103]
	v_dual_cndmask_b32 v103, -v105, v105, s16 :: v_dual_cndmask_b32 v95, -v95, v95, s1
	v_dual_cndmask_b32 v94, -v94, v94, s1 :: v_dual_cndmask_b32 v102, -v104, v104, s16
	;; [unrolled: 1-line block ×3, first 2 shown]
	s_wait_dscnt 0x8
	v_pk_add_f32 v[106:107], v[106:107], v[112:113]
	s_wait_dscnt 0x5
	v_pk_add_f32 v[94:95], v[94:95], v[114:115]
	v_pk_add_f32 v[102:103], v[102:103], v[110:111]
	s_wait_dscnt 0x3
	v_pk_add_f32 v[86:87], v[86:87], v[108:109]
	s_wait_dscnt 0x1
	v_pk_add_f32 v[96:97], v[96:97], v[116:117]
	ds_bpermute_b32 v108, v123, v106
	ds_bpermute_b32 v109, v123, v107
	;; [unrolled: 1-line block ×10, first 2 shown]
	v_dual_cndmask_b32 v121, -v103, v103, s17 :: v_dual_cndmask_b32 v120, -v102, v102, s17
	v_cndmask_b32_e64 v107, -v107, v107, s17
	ds_load_b128 v[102:105], v124 offset:8192
	ds_bpermute_b32 v137, v123, v133
	ds_bpermute_b32 v112, v122, v96
	;; [unrolled: 1-line block ×3, first 2 shown]
	v_dual_cndmask_b32 v106, -v106, v106, s17 :: v_dual_cndmask_b32 v95, -v95, v95, s16
	v_dual_cndmask_b32 v127, -v97, v97, s16 :: v_dual_cndmask_b32 v99, -v99, v99, s1
	;; [unrolled: 1-line block ×4, first 2 shown]
	ds_bpermute_b32 v134, v123, v138
	v_dual_cndmask_b32 v138, -v138, v138, s17 :: v_dual_cndmask_b32 v133, -v133, v133, s17
	s_wait_dscnt 0xa
	v_pk_add_f32 v[98:99], v[98:99], v[114:115]
	s_wait_dscnt 0x8
	v_pk_add_f32 v[100:101], v[100:101], v[116:117]
	;; [unrolled: 2-line block ×3, first 2 shown]
	v_cndmask_b32_e64 v126, -v96, v96, s16
	v_pk_add_f32 v[96:97], v[106:107], v[108:109]
	ds_load_b128 v[106:109], v124 offset:12288
	s_wait_dscnt 0x5
	ds_bpermute_b32 v128, v1, v104
	ds_bpermute_b32 v129, v1, v105
	s_wait_dscnt 0x6
	v_pk_add_f32 v[92:93], v[132:133], v[136:137]
	ds_bpermute_b32 v114, v122, v98
	ds_bpermute_b32 v115, v122, v99
	ds_bpermute_b32 v116, v122, v100
	ds_bpermute_b32 v117, v122, v101
	v_cndmask_b32_e64 v133, -v111, v111, s17
	s_wait_dscnt 0x8
	v_pk_add_f32 v[112:113], v[126:127], v[112:113]
	ds_bpermute_b32 v126, v1, v102
	ds_bpermute_b32 v127, v1, v103
	v_pk_add_f32 v[94:95], v[120:121], v[118:119]
	v_dual_cndmask_b32 v105, -v105, v105, s1 :: v_dual_cndmask_b32 v104, -v104, v104, s1
	ds_bpermute_b32 v120, v123, v112
	ds_bpermute_b32 v121, v123, v113
	v_dual_cndmask_b32 v113, -v113, v113, s17 :: v_dual_cndmask_b32 v99, -v99, v99, s16
	v_dual_cndmask_b32 v98, -v98, v98, s16 :: v_dual_cndmask_b32 v101, -v101, v101, s16
	;; [unrolled: 1-line block ×4, first 2 shown]
	s_wait_dscnt 0x8
	v_pk_add_f32 v[104:105], v[104:105], v[128:129]
	s_wait_dscnt 0x6
	v_pk_add_f32 v[98:99], v[98:99], v[114:115]
	v_cndmask_b32_e64 v112, -v112, v112, s17
	s_wait_dscnt 0x4
	v_pk_add_f32 v[114:115], v[100:101], v[116:117]
	v_pk_add_f32 v[90:91], v[138:139], v[134:135]
	ds_bpermute_b32 v128, v122, v104
	s_wait_dscnt 0x3
	v_pk_add_f32 v[102:103], v[102:103], v[126:127]
	ds_bpermute_b32 v129, v122, v105
	ds_bpermute_b32 v118, v123, v110
	;; [unrolled: 1-line block ×9, first 2 shown]
	s_wait_dscnt 0xa
	v_pk_add_f32 v[100:101], v[112:113], v[120:121]
	ds_bpermute_b32 v136, v1, v106
	ds_load_b128 v[110:113], v124 offset:16384
	ds_bpermute_b32 v137, v1, v107
	ds_bpermute_b32 v138, v1, v108
	;; [unrolled: 1-line block ×3, first 2 shown]
	v_dual_cndmask_b32 v105, -v105, v105, s16 :: v_dual_cndmask_b32 v104, -v104, v104, s16
	v_cndmask_b32_e64 v121, -v99, v99, s17
	v_dual_cndmask_b32 v103, -v103, v103, s16 :: v_dual_cndmask_b32 v102, -v102, v102, s16
	v_dual_cndmask_b32 v115, -v115, v115, s17 :: v_dual_cndmask_b32 v114, -v114, v114, s17
	v_dual_cndmask_b32 v120, -v98, v98, s17 :: v_dual_cndmask_b32 v107, -v107, v107, s1
	s_wait_dscnt 0xd
	v_pk_add_f32 v[128:129], v[104:105], v[128:129]
	v_dual_cndmask_b32 v106, -v106, v106, s1 :: v_dual_cndmask_b32 v109, -v109, v109, s1
	s_wait_dscnt 0x8
	v_pk_add_f32 v[126:127], v[102:103], v[126:127]
	v_pk_add_f32 v[98:99], v[132:133], v[118:119]
	s_wait_dscnt 0x6
	v_pk_add_f32 v[104:105], v[114:115], v[134:135]
	s_wait_dscnt 0x5
	v_pk_add_f32 v[102:103], v[120:121], v[116:117]
	ds_bpermute_b32 v120, v123, v128
	ds_bpermute_b32 v121, v123, v129
	v_cndmask_b32_e64 v108, -v108, v108, s1
	ds_load_b128 v[114:117], v124 offset:20480
	s_wait_dscnt 0x6
	ds_bpermute_b32 v132, v1, v112
	ds_bpermute_b32 v133, v1, v113
	s_wait_dscnt 0x7
	v_pk_add_f32 v[106:107], v[106:107], v[136:137]
	ds_bpermute_b32 v136, v1, v110
	ds_bpermute_b32 v137, v1, v111
	;; [unrolled: 1-line block ×3, first 2 shown]
	s_wait_dscnt 0x8
	v_pk_add_f32 v[134:135], v[108:109], v[138:139]
	ds_bpermute_b32 v119, v123, v127
	v_dual_cndmask_b32 v109, -v129, v129, s17 :: v_dual_cndmask_b32 v108, -v128, v128, s17
	v_cndmask_b32_e64 v127, -v127, v127, s17
	ds_bpermute_b32 v140, v122, v134
	ds_bpermute_b32 v141, v122, v135
	v_dual_cndmask_b32 v126, -v126, v126, s17 :: v_dual_cndmask_b32 v113, -v113, v113, s1
	v_dual_cndmask_b32 v112, -v112, v112, s1 :: v_dual_cndmask_b32 v111, -v111, v111, s1
	v_cndmask_b32_e64 v110, -v110, v110, s1
	ds_bpermute_b32 v138, v122, v106
	ds_bpermute_b32 v139, v122, v107
	s_wait_dscnt 0xb
	v_pk_add_f32 v[108:109], v[108:109], v[120:121]
	v_cndmask_b32_e64 v121, -v107, v107, s16
	s_wait_dscnt 0x8
	v_pk_add_f32 v[112:113], v[112:113], v[132:133]
	v_dual_cndmask_b32 v120, -v106, v106, s16 :: v_dual_cndmask_b32 v129, -v135, v135, s16
	s_wait_dscnt 0x6
	v_pk_add_f32 v[110:111], v[110:111], v[136:137]
	v_cndmask_b32_e64 v128, -v134, v134, s16
	ds_bpermute_b32 v132, v122, v112
	ds_bpermute_b32 v133, v122, v113
	s_wait_dscnt 0x6
	v_pk_add_f32 v[106:107], v[126:127], v[118:119]
	ds_bpermute_b32 v118, v122, v110
	ds_bpermute_b32 v119, v122, v111
	;; [unrolled: 1-line block ×6, first 2 shown]
	v_cndmask_b32_e64 v113, -v113, v113, s16
	s_wait_dscnt 0xa
	v_pk_add_f32 v[126:127], v[128:129], v[140:141]
	v_cndmask_b32_e64 v111, -v111, v111, s16
	s_wait_dscnt 0x8
	v_pk_add_f32 v[128:129], v[120:121], v[138:139]
	v_dual_cndmask_b32 v112, -v112, v112, s16 :: v_dual_cndmask_b32 v110, -v110, v110, s16
	ds_bpermute_b32 v140, v123, v126
	ds_bpermute_b32 v141, v123, v127
	v_dual_cndmask_b32 v127, -v127, v127, s17 :: v_dual_cndmask_b32 v143, -v129, v129, s17
	v_cndmask_b32_e64 v126, -v126, v126, s17
	ds_bpermute_b32 v138, v123, v128
	s_wait_dscnt 0x9
	v_pk_add_f32 v[132:133], v[112:113], v[132:133]
	v_dual_cndmask_b32 v113, -v115, v115, s1 :: v_dual_cndmask_b32 v115, -v117, v117, s1
	v_dual_cndmask_b32 v112, -v114, v114, s1 :: v_dual_cndmask_b32 v114, -v116, v116, s1
	s_wait_dscnt 0x7
	v_pk_add_f32 v[110:111], v[110:111], v[118:119]
	ds_load_b128 v[118:121], v124 offset:24576
	ds_bpermute_b32 v139, v123, v129
	s_wait_dscnt 0x7
	v_pk_add_f32 v[116:117], v[112:113], v[134:135]
	s_wait_dscnt 0x5
	v_pk_add_f32 v[114:115], v[114:115], v[136:137]
	v_cndmask_b32_e64 v142, -v128, v128, s17
	ds_bpermute_b32 v136, v123, v132
	ds_bpermute_b32 v137, v123, v133
	;; [unrolled: 1-line block ×6, first 2 shown]
	s_wait_dscnt 0x9
	v_pk_add_f32 v[112:113], v[126:127], v[140:141]
	ds_load_b128 v[126:129], v124 offset:28672
	v_dual_cndmask_b32 v133, -v133, v133, s17 :: v_dual_cndmask_b32 v116, -v116, v116, s16
	v_dual_cndmask_b32 v117, -v117, v117, s16 :: v_dual_cndmask_b32 v115, -v115, v115, s16
	;; [unrolled: 1-line block ×3, first 2 shown]
	ds_bpermute_b32 v134, v123, v110
	s_wait_dscnt 0x9
	ds_bpermute_b32 v150, v1, v120
	ds_bpermute_b32 v151, v1, v121
	;; [unrolled: 1-line block ×3, first 2 shown]
	v_cndmask_b32_e64 v141, -v111, v111, s17
	ds_bpermute_b32 v148, v1, v118
	ds_bpermute_b32 v149, v1, v119
	v_dual_cndmask_b32 v140, -v110, v110, s17 :: v_dual_cndmask_b32 v119, -v119, v119, s1
	s_wait_dscnt 0x9
	v_pk_add_f32 v[144:145], v[116:117], v[144:145]
	v_pk_add_f32 v[110:111], v[142:143], v[138:139]
	s_wait_dscnt 0x7
	v_pk_add_f32 v[138:139], v[114:115], v[146:147]
	v_pk_add_f32 v[116:117], v[132:133], v[136:137]
	s_wait_dscnt 0x6
	ds_bpermute_b32 v146, v1, v128
	ds_bpermute_b32 v147, v1, v129
	;; [unrolled: 1-line block ×4, first 2 shown]
	v_dual_cndmask_b32 v118, -v118, v118, s1 :: v_dual_cndmask_b32 v121, -v121, v121, s1
	v_dual_cndmask_b32 v120, -v120, v120, s1 :: v_dual_cndmask_b32 v137, -v145, v145, s17
	v_cndmask_b32_e64 v136, -v144, v144, s17
	ds_bpermute_b32 v144, v1, v126
	ds_bpermute_b32 v145, v1, v127
	s_wait_dscnt 0x9
	v_pk_add_f32 v[120:121], v[120:121], v[150:151]
	s_wait_dscnt 0x0
	s_barrier_signal -1
	s_barrier_wait -1
	ds_store_b128 v130, v[6:9]
	ds_store_b128 v130, v[2:5] offset:4096
	ds_store_b128 v130, v[10:13] offset:8192
	;; [unrolled: 1-line block ×7, first 2 shown]
	s_wait_dscnt 0x0
	s_barrier_signal -1
	s_barrier_wait -1
	ds_load_b128 v[6:9], v124
	ds_load_b128 v[14:17], v124 offset:4096
	ds_bpermute_b32 v143, v122, v121
	v_dual_cndmask_b32 v121, -v121, v121, s16 :: v_dual_cndmask_b32 v128, -v128, v128, s1
	v_dual_cndmask_b32 v129, -v129, v129, s1 :: v_dual_cndmask_b32 v3, -v127, v127, s1
	v_pk_add_f32 v[118:119], v[118:119], v[148:149]
	ds_bpermute_b32 v142, v122, v120
	v_dual_cndmask_b32 v2, -v126, v126, s1 :: v_dual_cndmask_b32 v120, -v120, v120, s16
	v_pk_add_f32 v[10:11], v[128:129], v[146:147]
	v_pk_add_f32 v[114:115], v[140:141], v[134:135]
	ds_bpermute_b32 v140, v122, v118
	ds_bpermute_b32 v141, v122, v119
	v_pk_add_f32 v[12:13], v[2:3], v[144:145]
	ds_bpermute_b32 v22, v122, v10
	ds_bpermute_b32 v23, v122, v11
	;; [unrolled: 1-line block ×3, first 2 shown]
	v_dual_cndmask_b32 v138, -v138, v138, s17 :: v_dual_cndmask_b32 v119, -v119, v119, s16
	ds_bpermute_b32 v24, v122, v12
	ds_bpermute_b32 v25, v122, v13
	s_wait_dscnt 0xa
	ds_bpermute_b32 v30, v1, v6
	ds_bpermute_b32 v31, v1, v7
	v_cndmask_b32_e64 v118, -v118, v118, s16
	ds_bpermute_b32 v32, v1, v8
	ds_bpermute_b32 v33, v1, v9
	s_wait_dscnt 0xb
	v_pk_add_f32 v[18:19], v[120:121], v[142:143]
	v_dual_cndmask_b32 v11, -v11, v11, s16 :: v_dual_cndmask_b32 v10, -v10, v10, s16
	v_dual_cndmask_b32 v13, -v13, v13, s16 :: v_dual_cndmask_b32 v12, -v12, v12, s16
	ds_bpermute_b32 v28, v123, v18
	s_wait_dscnt 0xa
	v_pk_add_f32 v[20:21], v[118:119], v[140:141]
	v_dual_cndmask_b32 v18, -v18, v18, s17 :: v_dual_cndmask_b32 v7, -v7, v7, s1
	s_wait_dscnt 0x8
	v_pk_add_f32 v[10:11], v[10:11], v[22:23]
	v_dual_cndmask_b32 v6, -v6, v6, s1 :: v_dual_cndmask_b32 v9, -v9, v9, s1
	ds_bpermute_b32 v26, v123, v20
	ds_bpermute_b32 v27, v123, v21
	;; [unrolled: 1-line block ×3, first 2 shown]
	s_wait_dscnt 0x8
	v_pk_add_f32 v[22:23], v[12:13], v[24:25]
	ds_bpermute_b32 v24, v123, v10
	ds_bpermute_b32 v25, v123, v11
	s_wait_dscnt 0x8
	v_pk_add_f32 v[6:7], v[6:7], v[30:31]
	v_dual_cndmask_b32 v8, -v8, v8, s1 :: v_dual_cndmask_b32 v119, -v11, v11, s17
	ds_bpermute_b32 v135, v123, v139
	v_cndmask_b32_e64 v139, -v139, v139, s17
	ds_bpermute_b32 v120, v122, v6
	ds_bpermute_b32 v121, v122, v7
	v_pk_add_f32 v[2:3], v[136:137], v[132:133]
	s_wait_dscnt 0x9
	v_pk_add_f32 v[32:33], v[8:9], v[32:33]
	ds_bpermute_b32 v126, v1, v16
	ds_bpermute_b32 v127, v1, v17
	;; [unrolled: 1-line block ×4, first 2 shown]
	v_dual_cndmask_b32 v21, -v21, v21, s17 :: v_dual_cndmask_b32 v20, -v20, v20, s17
	v_cndmask_b32_e64 v19, -v19, v19, s17
	ds_bpermute_b32 v30, v123, v22
	ds_bpermute_b32 v31, v123, v23
	;; [unrolled: 1-line block ×4, first 2 shown]
	v_dual_cndmask_b32 v118, -v10, v10, s17 :: v_dual_cndmask_b32 v23, -v23, v23, s17
	s_wait_dscnt 0xd
	v_pk_add_f32 v[12:13], v[18:19], v[28:29]
	v_pk_add_f32 v[10:11], v[20:21], v[26:27]
	v_cndmask_b32_e64 v22, -v22, v22, s17
	s_wait_dscnt 0xb
	v_pk_add_f32 v[8:9], v[118:119], v[24:25]
	v_cndmask_b32_e64 v25, -v7, v7, s16
	ds_load_b128 v[18:21], v124 offset:8192
	v_dual_cndmask_b32 v24, -v6, v6, s16 :: v_dual_cndmask_b32 v7, -v17, v17, s1
	v_dual_cndmask_b32 v6, -v16, v16, s1 :: v_dual_cndmask_b32 v17, -v33, v33, s16
	;; [unrolled: 1-line block ×3, first 2 shown]
	s_wait_dscnt 0x9
	s_delay_alu instid0(VALU_DEP_3)
	v_pk_add_f32 v[28:29], v[24:25], v[120:121]
	v_cndmask_b32_e64 v14, -v14, v14, s1
	s_wait_dscnt 0x7
	v_pk_add_f32 v[26:27], v[6:7], v[126:127]
	s_wait_dscnt 0x3
	v_pk_add_f32 v[6:7], v[22:23], v[30:31]
	ds_load_b128 v[22:25], v124 offset:12288
	ds_bpermute_b32 v33, v123, v29
	v_cndmask_b32_e64 v29, -v29, v29, s17
	v_pk_add_f32 v[14:15], v[14:15], v[132:133]
	s_wait_dscnt 0x3
	v_pk_add_f32 v[16:17], v[16:17], v[128:129]
	ds_bpermute_b32 v30, v122, v26
	ds_bpermute_b32 v31, v122, v27
	;; [unrolled: 1-line block ×6, first 2 shown]
	s_wait_dscnt 0x8
	ds_bpermute_b32 v126, v1, v18
	ds_bpermute_b32 v127, v1, v19
	;; [unrolled: 1-line block ×5, first 2 shown]
	v_dual_cndmask_b32 v28, -v28, v28, s17 :: v_dual_cndmask_b32 v27, -v27, v27, s16
	v_dual_cndmask_b32 v26, -v26, v26, s16 :: v_dual_cndmask_b32 v17, -v17, v17, s17
	;; [unrolled: 1-line block ×5, first 2 shown]
	s_wait_dscnt 0x9
	v_pk_add_f32 v[26:27], v[26:27], v[30:31]
	v_cndmask_b32_e64 v20, -v20, v20, s1
	ds_bpermute_b32 v136, v1, v24
	s_wait_dscnt 0x7
	v_pk_add_f32 v[30:31], v[14:15], v[120:121]
	ds_bpermute_b32 v137, v1, v25
	ds_bpermute_b32 v120, v123, v26
	;; [unrolled: 1-line block ×3, first 2 shown]
	s_wait_dscnt 0x7
	v_pk_add_f32 v[18:19], v[18:19], v[126:127]
	s_wait_dscnt 0x6
	v_pk_add_f32 v[16:17], v[16:17], v[118:119]
	ds_bpermute_b32 v118, v123, v30
	ds_bpermute_b32 v119, v123, v31
	s_wait_dscnt 0x6
	v_pk_add_f32 v[126:127], v[20:21], v[128:129]
	ds_bpermute_b32 v128, v122, v18
	ds_bpermute_b32 v129, v122, v19
	v_pk_add_f32 v[4:5], v[138:139], v[134:135]
	ds_bpermute_b32 v134, v1, v22
	ds_bpermute_b32 v135, v1, v23
	v_dual_cndmask_b32 v21, -v27, v27, s17 :: v_dual_cndmask_b32 v20, -v26, v26, s17
	v_cndmask_b32_e64 v31, -v31, v31, s17
	v_pk_add_f32 v[14:15], v[28:29], v[32:33]
	ds_load_b128 v[26:29], v124 offset:16384
	v_dual_cndmask_b32 v30, -v30, v30, s17 :: v_dual_cndmask_b32 v33, -v19, v19, s16
	v_dual_cndmask_b32 v23, -v23, v23, s1 :: v_dual_cndmask_b32 v25, -v25, v25, s1
	v_cndmask_b32_e64 v24, -v24, v24, s1
	ds_bpermute_b32 v132, v122, v126
	ds_bpermute_b32 v133, v122, v127
	s_wait_dscnt 0x9
	v_pk_add_f32 v[20:21], v[20:21], v[120:121]
	v_cndmask_b32_e64 v120, -v126, v126, s16
	v_cndmask_b32_e64 v32, -v18, v18, s16
	s_wait_dscnt 0x7
	v_pk_add_f32 v[18:19], v[30:31], v[118:119]
	v_pk_add_f32 v[30:31], v[24:25], v[136:137]
	v_dual_cndmask_b32 v121, -v127, v127, s16 :: v_dual_cndmask_b32 v22, -v22, v22, s1
	s_wait_dscnt 0x5
	v_pk_add_f32 v[32:33], v[32:33], v[128:129]
	ds_bpermute_b32 v128, v122, v30
	ds_bpermute_b32 v129, v122, v31
	s_wait_dscnt 0x5
	v_pk_add_f32 v[126:127], v[22:23], v[134:135]
	ds_load_b128 v[22:25], v124 offset:20480
	s_wait_dscnt 0x5
	ds_bpermute_b32 v136, v1, v28
	ds_bpermute_b32 v137, v1, v29
	v_dual_cndmask_b32 v31, -v31, v31, s16 :: v_dual_cndmask_b32 v30, -v30, v30, s16
	v_dual_cndmask_b32 v29, -v29, v29, s1 :: v_dual_cndmask_b32 v28, -v28, v28, s1
	s_wait_dscnt 0x5
	v_pk_add_f32 v[118:119], v[120:121], v[132:133]
	ds_bpermute_b32 v120, v122, v126
	ds_bpermute_b32 v121, v122, v127
	;; [unrolled: 1-line block ×8, first 2 shown]
	v_dual_cndmask_b32 v127, -v127, v127, s16 :: v_dual_cndmask_b32 v126, -v126, v126, s16
	s_wait_dscnt 0xb
	v_pk_add_f32 v[30:31], v[30:31], v[128:129]
	v_dual_cndmask_b32 v27, -v27, v27, s1 :: v_dual_cndmask_b32 v26, -v26, v26, s1
	v_cndmask_b32_e64 v33, -v33, v33, s17
	s_wait_dscnt 0x8
	v_pk_add_f32 v[128:129], v[28:29], v[136:137]
	ds_bpermute_b32 v136, v123, v30
	ds_bpermute_b32 v137, v123, v31
	v_dual_cndmask_b32 v119, -v119, v119, s17 :: v_dual_cndmask_b32 v118, -v118, v118, s17
	v_dual_cndmask_b32 v31, -v31, v31, s17 :: v_dual_cndmask_b32 v30, -v30, v30, s17
	v_cndmask_b32_e64 v149, -v129, v129, s16
	s_wait_dscnt 0x8
	v_pk_add_f32 v[126:127], v[126:127], v[120:121]
	s_wait_dscnt 0x6
	v_pk_add_f32 v[26:27], v[26:27], v[132:133]
	v_cndmask_b32_e64 v32, -v32, v32, s17
	ds_bpermute_b32 v142, v122, v128
	ds_bpermute_b32 v143, v122, v129
	;; [unrolled: 1-line block ×5, first 2 shown]
	v_cndmask_b32_e64 v126, -v126, v126, s17
	ds_bpermute_b32 v133, v123, v127
	s_wait_dscnt 0x8
	v_pk_add_f32 v[120:121], v[118:119], v[138:139]
	v_cndmask_b32_e64 v127, -v127, v127, s17
	v_dual_cndmask_b32 v139, -v27, v27, s16 :: v_dual_cndmask_b32 v138, -v26, v26, s16
	ds_bpermute_b32 v144, v1, v22
	ds_bpermute_b32 v145, v1, v23
	ds_load_b128 v[26:29], v124 offset:24576
	v_dual_cndmask_b32 v148, -v128, v128, s16 :: v_dual_cndmask_b32 v23, -v23, v23, s1
	v_pk_add_f32 v[118:119], v[32:33], v[134:135]
	s_wait_dscnt 0x9
	v_pk_add_f32 v[128:129], v[30:31], v[136:137]
	ds_load_b128 v[30:33], v124 offset:28672
	ds_bpermute_b32 v146, v1, v24
	ds_bpermute_b32 v147, v1, v25
	v_dual_cndmask_b32 v25, -v25, v25, s1 :: v_dual_cndmask_b32 v24, -v24, v24, s1
	s_wait_dscnt 0x0
	v_pk_add_f32 v[134:135], v[138:139], v[140:141]
	v_cndmask_b32_e64 v22, -v22, v22, s1
	v_pk_add_f32 v[126:127], v[126:127], v[132:133]
	v_pk_add_f32 v[132:133], v[148:149], v[142:143]
	s_barrier_signal -1
	ds_bpermute_b32 v136, v123, v134
	ds_bpermute_b32 v137, v123, v135
	s_barrier_wait -1
	v_pk_add_f32 v[22:23], v[22:23], v[144:145]
	ds_bpermute_b32 v140, v1, v26
	ds_bpermute_b32 v142, v1, v28
	;; [unrolled: 1-line block ×4, first 2 shown]
	v_cndmask_b32_e64 v145, -v135, v135, s17
	ds_bpermute_b32 v148, v1, v30
	ds_bpermute_b32 v149, v1, v31
	ds_bpermute_b32 v150, v1, v32
	ds_bpermute_b32 v151, v1, v33
	v_cndmask_b32_e64 v144, -v134, v134, s17
	ds_bpermute_b32 v134, v122, v22
	ds_bpermute_b32 v135, v122, v23
	v_pk_add_f32 v[24:25], v[24:25], v[146:147]
	v_dual_cndmask_b32 v27, -v27, v27, s1 :: v_dual_cndmask_b32 v29, -v29, v29, s1
	v_dual_cndmask_b32 v28, -v28, v28, s1 :: v_dual_cndmask_b32 v26, -v26, v26, s1
	ds_bpermute_b32 v146, v122, v24
	v_dual_cndmask_b32 v24, -v24, v24, s16 :: v_dual_cndmask_b32 v31, -v31, v31, s1
	v_dual_cndmask_b32 v30, -v30, v30, s1 :: v_dual_cndmask_b32 v33, -v33, v33, s1
	v_cndmask_b32_e64 v32, -v32, v32, s1
	ds_bpermute_b32 v139, v123, v133
	ds_bpermute_b32 v147, v122, v25
	v_dual_cndmask_b32 v23, -v23, v23, s16 :: v_dual_cndmask_b32 v22, -v22, v22, s16
	v_cndmask_b32_e64 v25, -v25, v25, s16
	s_wait_dscnt 0xa
	v_pk_add_f32 v[28:29], v[28:29], v[142:143]
	s_wait_dscnt 0x9
	v_pk_add_f32 v[26:27], v[26:27], v[140:141]
	;; [unrolled: 2-line block ×3, first 2 shown]
	v_cndmask_b32_e64 v133, -v133, v133, s17
	s_wait_dscnt 0x5
	v_pk_add_f32 v[32:33], v[32:33], v[150:151]
	s_wait_dscnt 0x3
	v_pk_add_f32 v[22:23], v[22:23], v[134:135]
	ds_bpermute_b32 v140, v122, v26
	ds_bpermute_b32 v141, v122, v27
	;; [unrolled: 1-line block ×9, first 2 shown]
	v_dual_cndmask_b32 v132, -v132, v132, s17 :: v_dual_cndmask_b32 v27, -v27, v27, s16
	s_wait_dscnt 0x9
	v_pk_add_f32 v[24:25], v[24:25], v[146:147]
	v_dual_cndmask_b32 v26, -v26, v26, s16 :: v_dual_cndmask_b32 v29, -v29, v29, s16
	v_dual_cndmask_b32 v28, -v28, v28, s16 :: v_dual_cndmask_b32 v31, -v31, v31, s16
	;; [unrolled: 1-line block ×3, first 2 shown]
	v_cndmask_b32_e64 v32, -v32, v32, s16
	ds_bpermute_b32 v150, v123, v24
	ds_bpermute_b32 v151, v123, v25
	s_wait_dscnt 0x9
	v_pk_add_f32 v[26:27], v[26:27], v[140:141]
	v_cndmask_b32_e64 v25, -v25, v25, s17
	s_wait_dscnt 0x7
	v_pk_add_f32 v[28:29], v[28:29], v[134:135]
	ds_bpermute_b32 v146, v123, v22
	s_wait_dscnt 0x6
	v_pk_add_f32 v[30:31], v[30:31], v[142:143]
	ds_bpermute_b32 v147, v123, v23
	;; [unrolled: 3-line block ×3, first 2 shown]
	ds_bpermute_b32 v141, v123, v27
	ds_bpermute_b32 v142, v123, v28
	;; [unrolled: 1-line block ×7, first 2 shown]
	v_dual_cndmask_b32 v24, -v24, v24, s17 :: v_dual_cndmask_b32 v23, -v23, v23, s17
	s_wait_dscnt 0xc
	v_pk_add_f32 v[134:135], v[132:133], v[138:139]
	v_dual_cndmask_b32 v22, -v22, v22, s17 :: v_dual_cndmask_b32 v33, -v33, v33, s17
	v_cndmask_b32_e64 v32, -v32, v32, s17
	s_wait_dscnt 0xa
	v_pk_add_f32 v[138:139], v[24:25], v[150:151]
	v_dual_cndmask_b32 v25, -v27, v27, s17 :: v_dual_cndmask_b32 v24, -v26, v26, s17
	v_dual_cndmask_b32 v27, -v29, v29, s17 :: v_dual_cndmask_b32 v26, -v28, v28, s17
	;; [unrolled: 1-line block ×3, first 2 shown]
	v_pk_add_f32 v[132:133], v[144:145], v[136:137]
	s_wait_dscnt 0x8
	v_pk_add_f32 v[136:137], v[22:23], v[146:147]
	s_wait_dscnt 0x4
	v_pk_add_f32 v[142:143], v[26:27], v[142:143]
	v_pk_add_f32 v[140:141], v[24:25], v[140:141]
	s_wait_dscnt 0x0
	v_pk_add_f32 v[146:147], v[32:33], v[148:149]
	v_pk_add_f32 v[144:145], v[28:29], v[122:123]
	ds_store_b128 v124, v[34:37]
	ds_store_b128 v124, v[42:45] offset:4096
	ds_store_b128 v124, v[38:41] offset:8192
	ds_store_b128 v124, v[50:53] offset:12288
	ds_store_b128 v124, v[58:61] offset:16384
	ds_store_b128 v124, v[66:69] offset:20480
	ds_store_b128 v124, v[74:77] offset:24576
	ds_store_b128 v124, v[70:73] offset:28672
	s_wait_dscnt 0x0
	s_barrier_signal -1
	s_barrier_wait -1
	ds_load_b128 v[38:41], v130
	ds_load_b128 v[22:25], v130 offset:4096
	ds_load_b128 v[50:53], v130 offset:8192
	ds_load_b128 v[30:33], v130 offset:12288
	ds_load_b128 v[42:45], v130 offset:16384
	ds_load_b128 v[26:29], v130 offset:20480
	ds_load_b128 v[58:61], v130 offset:24576
	ds_load_b128 v[34:37], v130 offset:28672
	s_wait_dscnt 0x0
	s_barrier_signal -1
	s_barrier_wait -1
	ds_store_b128 v124, v[78:81]
	ds_store_b128 v124, v[82:85] offset:4096
	ds_store_b128 v124, v[90:93] offset:8192
	ds_store_b128 v124, v[86:89] offset:12288
	ds_store_b128 v124, v[94:97] offset:16384
	ds_store_b128 v124, v[46:49] offset:20480
	ds_store_b128 v124, v[54:57] offset:24576
	ds_store_b128 v124, v[62:65] offset:28672
	s_wait_dscnt 0x0
	s_barrier_signal -1
	s_barrier_wait -1
	ds_load_b128 v[78:81], v130
	ds_load_b128 v[66:69], v130 offset:4096
	ds_load_b128 v[82:85], v130 offset:8192
	ds_load_b128 v[74:77], v130 offset:12288
	ds_load_b128 v[62:65], v130 offset:16384
	ds_load_b128 v[46:49], v130 offset:20480
	ds_load_b128 v[70:73], v130 offset:24576
	ds_load_b128 v[54:57], v130 offset:28672
	s_wait_dscnt 0x0
	s_barrier_signal -1
	s_barrier_wait -1
	;; [unrolled: 22-line block ×3, first 2 shown]
	ds_store_b128 v124, v[14:17]
	ds_store_b128 v124, v[18:21] offset:4096
	ds_store_b128 v124, v[118:121] offset:8192
	;; [unrolled: 1-line block ×7, first 2 shown]
	s_wait_dscnt 0x0
	s_barrier_signal -1
	s_barrier_wait -1
	ds_load_b128 v[110:113], v130
	ds_load_b128 v[118:121], v130 offset:8192
	ds_load_b128 v[14:17], v130 offset:16384
	ds_load_b128 v[18:21], v130 offset:24576
	ds_load_b128 v[122:125], v130 offset:4096
	ds_load_b128 v[126:129], v130 offset:12288
	ds_load_b128 v[106:109], v130 offset:20480
	ds_load_b128 v[114:117], v130 offset:28672
	v_pk_add_f32 v[180:181], v[40:41], v[52:53]
	v_pk_add_f32 v[178:179], v[38:39], v[50:51]
	;; [unrolled: 1-line block ×16, first 2 shown]
	s_wait_dscnt 0x6
	v_pk_add_f32 v[204:205], v[112:113], v[120:121]
	v_pk_add_f32 v[202:203], v[110:111], v[118:119]
	s_wait_dscnt 0x4
	v_pk_add_f32 v[212:213], v[16:17], v[20:21]
	v_pk_add_f32 v[210:211], v[14:15], v[18:19]
	;; [unrolled: 1-line block ×10, first 2 shown]
	s_wait_dscnt 0x2
	v_pk_add_f32 v[236:237], v[124:125], v[128:129]
	v_pk_add_f32 v[234:235], v[122:123], v[126:127]
	s_wait_dscnt 0x0
	v_pk_add_f32 v[240:241], v[108:109], v[116:117]
	v_pk_add_f32 v[238:239], v[106:107], v[114:115]
	v_pk_add_f32 v[152:153], v[180:181], v[184:185]
	v_pk_add_f32 v[148:149], v[178:179], v[182:183]
	v_pk_add_f32 v[160:161], v[188:189], v[192:193]
	v_pk_add_f32 v[158:159], v[186:187], v[190:191]
	v_pk_add_f32 v[146:147], v[196:197], v[200:201]
	v_pk_add_f32 v[154:155], v[204:205], v[212:213]
	v_pk_add_f32 v[150:151], v[194:195], v[198:199]
	v_pk_add_f32 v[156:157], v[202:203], v[210:211]
	v_pk_add_f32 v[170:171], v[208:209], v[216:217]
	v_pk_add_f32 v[166:167], v[206:207], v[214:215]
	v_pk_add_f32 v[176:177], v[220:221], v[224:225]
	v_pk_add_f32 v[174:175], v[218:219], v[222:223]
	v_pk_add_f32 v[164:165], v[228:229], v[232:233]
	v_pk_add_f32 v[162:163], v[226:227], v[230:231]
	v_pk_add_f32 v[172:173], v[236:237], v[240:241]
	v_pk_add_f32 v[168:169], v[234:235], v[238:239]
	v_pk_add_f32 v[132:133], v[152:153], v[160:161]
	v_pk_add_f32 v[130:131], v[148:149], v[158:159]
	v_pk_add_f32 v[134:135], v[146:147], v[154:155]
	v_pk_add_f32 v[144:145], v[150:151], v[156:157]
	v_pk_add_f32 v[138:139], v[170:171], v[176:177]
	v_pk_add_f32 v[136:137], v[166:167], v[174:175]
	v_pk_add_f32 v[142:143], v[164:165], v[172:173]
	v_pk_add_f32 v[140:141], v[162:163], v[168:169]
	s_lshl_b64 s[16:17], s[18:19], 1
	s_delay_alu instid0(SALU_CYCLE_1)
	s_add_nc_u64 s[16:17], s[22:23], s[16:17]
	s_and_saveexec_b32 s1, s15
	s_cbranch_execz .LBB25_34
; %bb.33:
	s_mov_b32 s18, s20
	s_mov_b32 s19, s20
	v_mov_b64_e32 v[248:249], s[20:21]
	v_mov_b64_e32 v[246:247], s[18:19]
	v_pk_add_f32 v[242:243], v[132:133], v[134:135]
	v_pk_add_f32 v[244:245], v[130:131], v[144:145]
	;; [unrolled: 1-line block ×4, first 2 shown]
	s_delay_alu instid0(VALU_DEP_3) | instskip(SKIP_1) | instid1(VALU_DEP_4)
	v_pk_mul_f32 v[244:245], v[248:249], v[244:245]
	v_pk_mul_f32 v[242:243], v[246:247], v[242:243]
	;; [unrolled: 1-line block ×3, first 2 shown]
	s_delay_alu instid0(VALU_DEP_4) | instskip(NEXT) | instid1(VALU_DEP_3)
	v_pk_mul_f32 v[248:249], v[248:249], v[252:253]
	v_cvt_pk_f16_f32 v243, v242, v243
	v_cvt_pk_f16_f32 v242, v244, v245
	s_delay_alu instid0(VALU_DEP_4) | instskip(NEXT) | instid1(VALU_DEP_4)
	v_cvt_pk_f16_f32 v245, v246, v247
	v_cvt_pk_f16_f32 v244, v248, v249
	global_store_b128 v0, v[242:245], s[16:17] scale_offset
.LBB25_34:
	s_wait_xcnt 0x0
	s_or_b32 exec_lo, exec_lo, s1
	v_dual_sub_f32 v41, v41, v53 :: v_dual_sub_f32 v40, v40, v52
	v_dual_sub_f32 v39, v39, v51 :: v_dual_sub_f32 v38, v38, v50
	;; [unrolled: 1-line block ×20, first 2 shown]
	s_set_vgpr_msb 64                       ;  msbs: dst=1 src0=0 src1=0 src2=0
	v_dual_sub_f32 v9 /*v265*/, v13, v93 :: v_dual_sub_f32 v8 /*v264*/, v12, v92
	v_dual_sub_f32 v7 /*v263*/, v11, v91 :: v_dual_sub_f32 v6 /*v262*/, v10, v90
	;; [unrolled: 1-line block ×3, first 2 shown]
	s_set_vgpr_msb 0                        ;  msbs: dst=0 src0=0 src1=0 src2=0
	v_dual_sub_f32 v255, v3, v7 :: v_dual_sub_f32 v254, v2, v6
	s_set_vgpr_msb 64                       ;  msbs: dst=1 src0=0 src1=0 src2=0
	v_dual_sub_f32 v5 /*v261*/, v113, v121 :: v_dual_sub_f32 v4 /*v260*/, v112, v120
	v_dual_sub_f32 v3 /*v259*/, v111, v119 :: v_dual_sub_f32 v2 /*v258*/, v110, v118
	s_set_vgpr_msb 0                        ;  msbs: dst=0 src0=0 src1=0 src2=0
	v_dual_sub_f32 v253, v125, v129 :: v_dual_sub_f32 v252, v124, v128
	v_dual_sub_f32 v251, v123, v127 :: v_dual_sub_f32 v250, v122, v126
	s_set_vgpr_msb 64                       ;  msbs: dst=1 src0=0 src1=0 src2=0
	v_dual_sub_f32 v17 /*v273*/, v17, v21 :: v_dual_sub_f32 v16 /*v272*/, v16, v20
	v_dual_sub_f32 v15 /*v271*/, v15, v19 :: v_dual_sub_f32 v14 /*v270*/, v14, v18
	;; [unrolled: 1-line block ×4, first 2 shown]
	s_set_vgpr_msb 0                        ;  msbs: dst=0 src0=0 src1=0 src2=0
	v_pk_add_f32 v[64:65], v[40:41], v[50:51]
	v_pk_add_f32 v[66:67], v[38:39], v[44:45]
	;; [unrolled: 1-line block ×4, first 2 shown]
	s_set_vgpr_msb 4                        ;  msbs: dst=0 src0=0 src1=1 src2=0
	v_pk_add_f32 v[72:73], v[244:245], v[8:9] /*v[264:265]*/
	s_set_vgpr_msb 5                        ;  msbs: dst=0 src0=1 src1=1 src2=0
	v_pk_add_f32 v[76:77], v[4:5] /*v[260:261]*/, v[16:17] /*v[272:273]*/
	s_set_vgpr_msb 4                        ;  msbs: dst=0 src0=0 src1=1 src2=0
	v_pk_add_f32 v[74:75], v[62:63], v[6:7] /*v[262:263]*/
	s_set_vgpr_msb 5                        ;  msbs: dst=0 src0=1 src1=1 src2=0
	v_pk_add_f32 v[78:79], v[2:3] /*v[258:259]*/, v[14:15] /*v[270:271]*/
	s_set_vgpr_msb 0                        ;  msbs: dst=0 src0=0 src1=0 src2=0
	v_pk_add_f32 v[80:81], v[42:43], v[58:59]
	v_pk_add_f32 v[82:83], v[32:33], v[52:53]
	;; [unrolled: 1-line block ×4, first 2 shown]
	s_set_vgpr_msb 4                        ;  msbs: dst=0 src0=0 src1=1 src2=0
	v_pk_add_f32 v[88:89], v[48:49], v[0:1] /*v[256:257]*/
	s_set_vgpr_msb 0                        ;  msbs: dst=0 src0=0 src1=0 src2=0
	v_pk_add_f32 v[90:91], v[46:47], v[254:255]
	s_set_vgpr_msb 4                        ;  msbs: dst=0 src0=0 src1=1 src2=0
	v_pk_add_f32 v[92:93], v[252:253], v[12:13] /*v[268:269]*/
	v_pk_add_f32 v[94:95], v[250:251], v[10:11] /*v[266:267]*/
	s_set_vgpr_msb 0                        ;  msbs: dst=0 src0=0 src1=0 src2=0
	v_pk_add_f32 v[2:3], v[64:65], v[68:69]
	v_pk_add_f32 v[0:1], v[66:67], v[70:71]
	;; [unrolled: 1-line block ×8, first 2 shown]
	s_and_saveexec_b32 s1, s14
	s_cbranch_execz .LBB25_36
; %bb.35:
	s_mov_b32 s14, s20
	s_mov_b32 s15, s20
	v_mov_b64_e32 v[22:23], s[20:21]
	v_mov_b64_e32 v[20:21], s[14:15]
	v_pk_add_f32 v[16:17], v[2:3], v[4:5]
	v_pk_add_f32 v[18:19], v[0:1], v[14:15]
	v_pk_add_f32 v[24:25], v[8:9], v[12:13]
	v_pk_add_f32 v[26:27], v[6:7], v[10:11]
	s_delay_alu instid0(VALU_DEP_3) | instskip(SKIP_1) | instid1(VALU_DEP_4)
	v_pk_mul_f32 v[18:19], v[22:23], v[18:19]
	v_pk_mul_f32 v[16:17], v[20:21], v[16:17]
	;; [unrolled: 1-line block ×3, first 2 shown]
	s_delay_alu instid0(VALU_DEP_4) | instskip(NEXT) | instid1(VALU_DEP_3)
	v_pk_mul_f32 v[22:23], v[22:23], v[26:27]
	v_cvt_pk_f16_f32 v17, v16, v17
	v_cvt_pk_f16_f32 v16, v18, v19
	s_delay_alu instid0(VALU_DEP_4) | instskip(NEXT) | instid1(VALU_DEP_4)
	v_cvt_pk_f16_f32 v19, v20, v21
	v_cvt_pk_f16_f32 v18, v22, v23
	s_set_vgpr_msb 1                        ;  msbs: dst=0 src0=1 src1=0 src2=0
	global_store_b128 v32 /*v288*/, v[16:19], s[16:17] scale_offset
.LBB25_36:
	s_wait_xcnt 0x0
	s_or_b32 exec_lo, exec_lo, s1
	s_set_vgpr_msb 0                        ;  msbs: dst=0 src0=0 src1=0 src2=0
	v_dual_sub_f32 v99, v181, v185 :: v_dual_sub_f32 v98, v180, v184
	v_dual_sub_f32 v97, v179, v183 :: v_dual_sub_f32 v96, v178, v182
	;; [unrolled: 1-line block ×16, first 2 shown]
	v_pk_add_f32 v[16:17], v[98:99], v[106:107]
	v_pk_add_f32 v[18:19], v[96:97], v[104:105]
	;; [unrolled: 1-line block ×8, first 2 shown]
	s_and_saveexec_b32 s1, s13
	s_cbranch_execz .LBB25_38
; %bb.37:
	s_mov_b32 s14, s20
	s_mov_b32 s15, s20
	v_mov_b64_e32 v[182:183], s[20:21]
	v_mov_b64_e32 v[180:181], s[14:15]
	v_pk_add_f32 v[128:129], v[16:17], v[20:21]
	v_pk_add_f32 v[178:179], v[18:19], v[26:27]
	;; [unrolled: 1-line block ×4, first 2 shown]
	s_delay_alu instid0(VALU_DEP_3) | instskip(SKIP_1) | instid1(VALU_DEP_4)
	v_pk_mul_f32 v[188:189], v[182:183], v[178:179]
	v_pk_mul_f32 v[128:129], v[180:181], v[128:129]
	;; [unrolled: 1-line block ×3, first 2 shown]
	s_delay_alu instid0(VALU_DEP_4) | instskip(NEXT) | instid1(VALU_DEP_4)
	v_pk_mul_f32 v[182:183], v[182:183], v[186:187]
	v_cvt_pk_f16_f32 v178, v188, v189
	s_delay_alu instid0(VALU_DEP_4) | instskip(NEXT) | instid1(VALU_DEP_4)
	v_cvt_pk_f16_f32 v179, v128, v129
	v_cvt_pk_f16_f32 v181, v180, v181
	s_delay_alu instid0(VALU_DEP_4)
	v_cvt_pk_f16_f32 v180, v182, v183
	s_set_vgpr_msb 1                        ;  msbs: dst=0 src0=1 src1=0 src2=0
	global_store_b128 v31 /*v287*/, v[178:181], s[16:17] scale_offset
.LBB25_38:
	s_wait_xcnt 0x0
	s_or_b32 exec_lo, exec_lo, s1
	s_set_vgpr_msb 0                        ;  msbs: dst=0 src0=0 src1=0 src2=0
	v_dual_sub_f32 v183, v41, v51 :: v_dual_sub_f32 v182, v40, v50
	v_dual_sub_f32 v181, v39, v45 :: v_dual_sub_f32 v180, v38, v44
	;; [unrolled: 1-line block ×8, first 2 shown]
	s_set_vgpr_msb 4                        ;  msbs: dst=0 src0=0 src1=1 src2=0
	v_dual_sub_f32 v191, v245, v9 /*v265*/ :: v_dual_sub_f32 v190, v244, v8 /*v264*/
	v_dual_sub_f32 v189, v63, v7 /*v263*/ :: v_dual_sub_f32 v188, v62, v6 /*v262*/
	;; [unrolled: 1-line block ×3, first 2 shown]
	s_set_vgpr_msb 0                        ;  msbs: dst=0 src0=0 src1=0 src2=0
	v_dual_sub_f32 v185, v47, v255 :: v_dual_sub_f32 v184, v46, v254
	s_set_vgpr_msb 5                        ;  msbs: dst=0 src0=1 src1=1 src2=0
	v_dual_sub_f32 v207, v5 /*v261*/, v17 /*v273*/ :: v_dual_sub_f32 v206, v4 /*v260*/, v16 /*v272*/
	v_dual_sub_f32 v205, v3 /*v259*/, v15 /*v271*/ :: v_dual_sub_f32 v204, v2 /*v258*/, v14 /*v270*/
	s_set_vgpr_msb 4                        ;  msbs: dst=0 src0=0 src1=1 src2=0
	v_dual_sub_f32 v203, v253, v13 /*v269*/ :: v_dual_sub_f32 v202, v252, v12 /*v268*/
	v_dual_sub_f32 v201, v251, v11 /*v267*/ :: v_dual_sub_f32 v200, v250, v10 /*v266*/
	s_set_vgpr_msb 0                        ;  msbs: dst=0 src0=0 src1=0 src2=0
	v_pk_add_f32 v[32:33], v[182:183], v[198:199]
	v_pk_add_f32 v[34:35], v[180:181], v[196:197]
	;; [unrolled: 1-line block ×8, first 2 shown]
	s_and_saveexec_b32 s1, s10
	s_cbranch_execz .LBB25_40
; %bb.39:
	s_mov_b32 s14, s20
	s_mov_b32 s15, s20
	v_mov_b64_e32 v[54:55], s[20:21]
	v_mov_b64_e32 v[52:53], s[14:15]
	v_pk_add_f32 v[48:49], v[32:33], v[40:41]
	v_pk_add_f32 v[50:51], v[34:35], v[42:43]
	v_pk_add_f32 v[56:57], v[36:37], v[44:45]
	v_pk_add_f32 v[58:59], v[38:39], v[46:47]
	s_delay_alu instid0(VALU_DEP_3) | instskip(SKIP_1) | instid1(VALU_DEP_4)
	v_pk_mul_f32 v[50:51], v[54:55], v[50:51]
	v_pk_mul_f32 v[48:49], v[52:53], v[48:49]
	v_pk_mul_f32 v[52:53], v[52:53], v[56:57]
	s_delay_alu instid0(VALU_DEP_4) | instskip(NEXT) | instid1(VALU_DEP_3)
	v_pk_mul_f32 v[54:55], v[54:55], v[58:59]
	v_cvt_pk_f16_f32 v49, v48, v49
	v_cvt_pk_f16_f32 v48, v50, v51
	s_delay_alu instid0(VALU_DEP_4) | instskip(NEXT) | instid1(VALU_DEP_4)
	v_cvt_pk_f16_f32 v51, v52, v53
	v_cvt_pk_f16_f32 v50, v54, v55
	s_set_vgpr_msb 1                        ;  msbs: dst=0 src0=1 src1=0 src2=0
	global_store_b128 v28 /*v284*/, v[48:51], s[16:17] scale_offset
.LBB25_40:
	s_wait_xcnt 0x0
	s_or_b32 exec_lo, exec_lo, s1
	s_set_vgpr_msb 0                        ;  msbs: dst=0 src0=0 src1=0 src2=0
	v_dual_sub_f32 v53, v153, v161 :: v_dual_sub_f32 v52, v152, v160
	v_dual_sub_f32 v55, v149, v159 :: v_dual_sub_f32 v54, v148, v158
	v_dual_sub_f32 v61, v147, v155 :: v_dual_sub_f32 v60, v146, v154
	v_dual_sub_f32 v63, v151, v157 :: v_dual_sub_f32 v62, v150, v156
	v_dual_sub_f32 v49, v171, v177 :: v_dual_sub_f32 v48, v170, v176
	v_dual_sub_f32 v51, v167, v175 :: v_dual_sub_f32 v50, v166, v174
	v_dual_sub_f32 v57, v165, v173 :: v_dual_sub_f32 v56, v164, v172
	v_dual_sub_f32 v59, v163, v169 :: v_dual_sub_f32 v58, v162, v168
	s_and_saveexec_b32 s1, s7
	s_cbranch_execz .LBB25_42
; %bb.41:
	s_mov_b32 s14, s20
	s_mov_b32 s15, s20
	v_mov_b64_e32 v[152:153], s[20:21]
	v_mov_b64_e32 v[150:151], s[14:15]
	v_pk_add_f32 v[146:147], v[52:53], v[60:61]
	v_pk_add_f32 v[148:149], v[54:55], v[62:63]
	v_pk_add_f32 v[154:155], v[48:49], v[56:57]
	v_pk_add_f32 v[156:157], v[50:51], v[58:59]
	s_delay_alu instid0(VALU_DEP_3) | instskip(SKIP_1) | instid1(VALU_DEP_4)
	v_pk_mul_f32 v[148:149], v[152:153], v[148:149]
	v_pk_mul_f32 v[146:147], v[150:151], v[146:147]
	v_pk_mul_f32 v[150:151], v[150:151], v[154:155]
	s_delay_alu instid0(VALU_DEP_4) | instskip(NEXT) | instid1(VALU_DEP_3)
	v_pk_mul_f32 v[152:153], v[152:153], v[156:157]
	v_cvt_pk_f16_f32 v147, v146, v147
	v_cvt_pk_f16_f32 v146, v148, v149
	s_delay_alu instid0(VALU_DEP_4) | instskip(NEXT) | instid1(VALU_DEP_4)
	v_cvt_pk_f16_f32 v149, v150, v151
	v_cvt_pk_f16_f32 v148, v152, v153
	s_set_vgpr_msb 1                        ;  msbs: dst=0 src0=1 src1=0 src2=0
	global_store_b128 v25 /*v281*/, v[146:149], s[16:17] scale_offset
.LBB25_42:
	s_wait_xcnt 0x0
	s_or_b32 exec_lo, exec_lo, s1
	s_set_vgpr_msb 0                        ;  msbs: dst=0 src0=0 src1=0 src2=0
	v_dual_sub_f32 v69, v65, v69 :: v_dual_sub_f32 v68, v64, v68
	v_dual_sub_f32 v71, v67, v71 :: v_dual_sub_f32 v70, v66, v70
	v_dual_sub_f32 v77, v73, v77 :: v_dual_sub_f32 v76, v72, v76
	v_dual_sub_f32 v79, v75, v79 :: v_dual_sub_f32 v78, v74, v78
	v_dual_sub_f32 v65, v81, v85 :: v_dual_sub_f32 v64, v80, v84
	v_dual_sub_f32 v67, v83, v87 :: v_dual_sub_f32 v66, v82, v86
	v_dual_sub_f32 v73, v89, v93 :: v_dual_sub_f32 v72, v88, v92
	v_dual_sub_f32 v75, v91, v95 :: v_dual_sub_f32 v74, v90, v94
	;; [unrolled: 36-line block ×4, first 2 shown]
	s_and_saveexec_b32 s1, vcc_lo
	s_cbranch_execnz .LBB25_56
; %bb.47:
	s_or_b32 exec_lo, exec_lo, s1
	s_and_saveexec_b32 s1, s3
	s_cbranch_execnz .LBB25_57
.LBB25_48:
	s_or_b32 exec_lo, exec_lo, s1
	s_and_saveexec_b32 s1, s4
	s_cbranch_execnz .LBB25_58
.LBB25_49:
	s_or_b32 exec_lo, exec_lo, s1
	s_and_saveexec_b32 s1, s6
	s_cbranch_execnz .LBB25_59
.LBB25_50:
	s_or_b32 exec_lo, exec_lo, s1
	s_and_saveexec_b32 s1, s8
	s_cbranch_execnz .LBB25_60
.LBB25_51:
	s_or_b32 exec_lo, exec_lo, s1
	s_and_saveexec_b32 s1, s9
	s_cbranch_execnz .LBB25_61
.LBB25_52:
	s_or_b32 exec_lo, exec_lo, s1
	s_and_saveexec_b32 s1, s11
	s_cbranch_execnz .LBB25_62
.LBB25_53:
	s_or_b32 exec_lo, exec_lo, s1
	s_and_saveexec_b32 s1, s12
	s_cbranch_execnz .LBB25_63
.LBB25_54:
	s_or_b32 exec_lo, exec_lo, s1
	s_and_saveexec_b32 s1, s0
	s_cbranch_execnz .LBB25_64
.LBB25_55:
	s_sendmsg sendmsg(MSG_DEALLOC_VGPRS)
	s_endpgm
.LBB25_56:
	s_mov_b32 s14, s20
	s_mov_b32 s15, s20
	v_mov_b64_e32 v[118:119], s[20:21]
	v_mov_b64_e32 v[116:117], s[14:15]
	v_pk_add_f32 v[112:113], v[100:101], v[108:109]
	v_pk_add_f32 v[114:115], v[102:103], v[110:111]
	;; [unrolled: 1-line block ×4, first 2 shown]
	s_delay_alu instid0(VALU_DEP_3) | instskip(SKIP_1) | instid1(VALU_DEP_4)
	v_pk_mul_f32 v[114:115], v[118:119], v[114:115]
	v_pk_mul_f32 v[112:113], v[116:117], v[112:113]
	;; [unrolled: 1-line block ×3, first 2 shown]
	s_delay_alu instid0(VALU_DEP_4) | instskip(NEXT) | instid1(VALU_DEP_3)
	v_pk_mul_f32 v[118:119], v[118:119], v[122:123]
	v_cvt_pk_f16_f32 v113, v112, v113
	v_cvt_pk_f16_f32 v112, v114, v115
	s_delay_alu instid0(VALU_DEP_4) | instskip(NEXT) | instid1(VALU_DEP_4)
	v_cvt_pk_f16_f32 v115, v116, v117
	v_cvt_pk_f16_f32 v114, v118, v119
	s_set_vgpr_msb 1                        ;  msbs: dst=0 src0=1 src1=0 src2=0
	global_store_b128 v18 /*v274*/, v[112:115], s[16:17] scale_offset
	s_wait_xcnt 0x0
	s_or_b32 exec_lo, exec_lo, s1
	s_and_saveexec_b32 s1, s3
	s_set_vgpr_msb 0                        ;  msbs: dst=0 src0=0 src1=0 src2=0
	s_cbranch_execz .LBB25_48
.LBB25_57:
	s_mov_b32 s2, s20
	s_mov_b32 s3, s20
	v_mov_b64_e32 v[116:117], s[20:21]
	v_mov_b64_e32 v[118:119], s[2:3]
	v_dual_sub_f32 v113, v133, v135 :: v_dual_sub_f32 v112, v132, v134
	v_dual_sub_f32 v115, v131, v145 :: v_dual_sub_f32 v114, v130, v144
	;; [unrolled: 1-line block ×4, first 2 shown]
	s_delay_alu instid0(VALU_DEP_4) | instskip(NEXT) | instid1(VALU_DEP_4)
	v_pk_mul_f32 v[112:113], v[118:119], v[112:113]
	v_pk_mul_f32 v[114:115], v[116:117], v[114:115]
	s_delay_alu instid0(VALU_DEP_4) | instskip(NEXT) | instid1(VALU_DEP_4)
	v_pk_mul_f32 v[118:119], v[118:119], v[120:121]
	v_pk_mul_f32 v[116:117], v[116:117], v[122:123]
	s_delay_alu instid0(VALU_DEP_4) | instskip(NEXT) | instid1(VALU_DEP_4)
	v_cvt_pk_f16_f32 v113, v112, v113
	v_cvt_pk_f16_f32 v112, v114, v115
	s_delay_alu instid0(VALU_DEP_4) | instskip(NEXT) | instid1(VALU_DEP_4)
	v_cvt_pk_f16_f32 v115, v118, v119
	v_cvt_pk_f16_f32 v114, v116, v117
	s_set_vgpr_msb 1                        ;  msbs: dst=0 src0=1 src1=0 src2=0
	global_store_b128 v19 /*v275*/, v[112:115], s[16:17] scale_offset
	s_wait_xcnt 0x0
	s_or_b32 exec_lo, exec_lo, s1
	s_and_saveexec_b32 s1, s4
	s_set_vgpr_msb 0                        ;  msbs: dst=0 src0=0 src1=0 src2=0
	s_cbranch_execz .LBB25_49
.LBB25_58:
	s_mov_b32 s2, s20
	s_mov_b32 s3, s20
	v_dual_sub_f32 v3, v3, v5 :: v_dual_sub_f32 v2, v2, v4
	v_dual_sub_f32 v1, v1, v15 :: v_dual_sub_f32 v0, v0, v14
	v_mov_b64_e32 v[4:5], s[20:21]
	v_mov_b64_e32 v[14:15], s[2:3]
	v_dual_sub_f32 v9, v9, v13 :: v_dual_sub_f32 v8, v8, v12
	v_dual_sub_f32 v7, v7, v11 :: v_dual_sub_f32 v6, v6, v10
	s_delay_alu instid0(VALU_DEP_4) | instskip(NEXT) | instid1(VALU_DEP_4)
	v_pk_mul_f32 v[10:11], v[4:5], v[0:1]
	v_pk_mul_f32 v[2:3], v[14:15], v[2:3]
	s_delay_alu instid0(VALU_DEP_4) | instskip(NEXT) | instid1(VALU_DEP_4)
	v_pk_mul_f32 v[8:9], v[14:15], v[8:9]
	v_pk_mul_f32 v[4:5], v[4:5], v[6:7]
	s_delay_alu instid0(VALU_DEP_4) | instskip(NEXT) | instid1(VALU_DEP_4)
	v_cvt_pk_f16_f32 v0, v10, v11
	v_cvt_pk_f16_f32 v1, v2, v3
	s_delay_alu instid0(VALU_DEP_4) | instskip(NEXT) | instid1(VALU_DEP_4)
	v_cvt_pk_f16_f32 v3, v8, v9
	v_cvt_pk_f16_f32 v2, v4, v5
	s_set_vgpr_msb 1                        ;  msbs: dst=0 src0=1 src1=0 src2=0
	global_store_b128 v21 /*v277*/, v[0:3], s[16:17] scale_offset
	s_wait_xcnt 0x0
	s_or_b32 exec_lo, exec_lo, s1
	s_and_saveexec_b32 s1, s6
	s_set_vgpr_msb 0                        ;  msbs: dst=0 src0=0 src1=0 src2=0
	s_cbranch_execz .LBB25_50
.LBB25_59:
	s_mov_b32 s2, s20
	s_mov_b32 s3, s20
	v_mov_b64_e32 v[4:5], s[20:21]
	v_mov_b64_e32 v[6:7], s[2:3]
	v_dual_sub_f32 v1, v17, v21 :: v_dual_sub_f32 v0, v16, v20
	v_dual_sub_f32 v3, v19, v27 :: v_dual_sub_f32 v2, v18, v26
	;; [unrolled: 1-line block ×4, first 2 shown]
	s_delay_alu instid0(VALU_DEP_4) | instskip(NEXT) | instid1(VALU_DEP_4)
	v_pk_mul_f32 v[0:1], v[6:7], v[0:1]
	v_pk_mul_f32 v[2:3], v[4:5], v[2:3]
	s_delay_alu instid0(VALU_DEP_4) | instskip(NEXT) | instid1(VALU_DEP_4)
	v_pk_mul_f32 v[6:7], v[6:7], v[8:9]
	v_pk_mul_f32 v[4:5], v[4:5], v[10:11]
	s_delay_alu instid0(VALU_DEP_4) | instskip(NEXT) | instid1(VALU_DEP_4)
	v_cvt_pk_f16_f32 v1, v0, v1
	v_cvt_pk_f16_f32 v0, v2, v3
	s_delay_alu instid0(VALU_DEP_4) | instskip(NEXT) | instid1(VALU_DEP_4)
	v_cvt_pk_f16_f32 v3, v6, v7
	v_cvt_pk_f16_f32 v2, v4, v5
	s_set_vgpr_msb 1                        ;  msbs: dst=0 src0=1 src1=0 src2=0
	global_store_b128 v22 /*v278*/, v[0:3], s[16:17] scale_offset
	s_wait_xcnt 0x0
	s_or_b32 exec_lo, exec_lo, s1
	s_and_saveexec_b32 s1, s8
	s_set_vgpr_msb 0                        ;  msbs: dst=0 src0=0 src1=0 src2=0
	s_cbranch_execz .LBB25_51
.LBB25_60:
	s_mov_b32 s2, s20
	s_mov_b32 s3, s20
	v_mov_b64_e32 v[4:5], s[20:21]
	v_mov_b64_e32 v[6:7], s[2:3]
	v_dual_sub_f32 v1, v33, v41 :: v_dual_sub_f32 v0, v32, v40
	v_dual_sub_f32 v3, v35, v43 :: v_dual_sub_f32 v2, v34, v42
	;; [unrolled: 1-line block ×4, first 2 shown]
	s_delay_alu instid0(VALU_DEP_4) | instskip(NEXT) | instid1(VALU_DEP_4)
	v_pk_mul_f32 v[0:1], v[6:7], v[0:1]
	v_pk_mul_f32 v[2:3], v[4:5], v[2:3]
	s_delay_alu instid0(VALU_DEP_4) | instskip(NEXT) | instid1(VALU_DEP_4)
	v_pk_mul_f32 v[6:7], v[6:7], v[8:9]
	v_pk_mul_f32 v[4:5], v[4:5], v[10:11]
	s_delay_alu instid0(VALU_DEP_4) | instskip(NEXT) | instid1(VALU_DEP_4)
	v_cvt_pk_f16_f32 v1, v0, v1
	v_cvt_pk_f16_f32 v0, v2, v3
	s_delay_alu instid0(VALU_DEP_4) | instskip(NEXT) | instid1(VALU_DEP_4)
	v_cvt_pk_f16_f32 v3, v6, v7
	v_cvt_pk_f16_f32 v2, v4, v5
	s_set_vgpr_msb 1                        ;  msbs: dst=0 src0=1 src1=0 src2=0
	global_store_b128 v24 /*v280*/, v[0:3], s[16:17] scale_offset
	s_wait_xcnt 0x0
	s_or_b32 exec_lo, exec_lo, s1
	s_and_saveexec_b32 s1, s9
	s_set_vgpr_msb 0                        ;  msbs: dst=0 src0=0 src1=0 src2=0
	s_cbranch_execz .LBB25_52
.LBB25_61:
	s_mov_b32 s2, s20
	s_mov_b32 s3, s20
	v_mov_b64_e32 v[4:5], s[20:21]
	v_mov_b64_e32 v[6:7], s[2:3]
	v_dual_sub_f32 v1, v53, v61 :: v_dual_sub_f32 v0, v52, v60
	v_dual_sub_f32 v3, v55, v63 :: v_dual_sub_f32 v2, v54, v62
	;; [unrolled: 1-line block ×4, first 2 shown]
	s_delay_alu instid0(VALU_DEP_4) | instskip(NEXT) | instid1(VALU_DEP_4)
	v_pk_mul_f32 v[0:1], v[6:7], v[0:1]
	v_pk_mul_f32 v[2:3], v[4:5], v[2:3]
	s_delay_alu instid0(VALU_DEP_4) | instskip(NEXT) | instid1(VALU_DEP_4)
	v_pk_mul_f32 v[6:7], v[6:7], v[8:9]
	v_pk_mul_f32 v[4:5], v[4:5], v[10:11]
	s_delay_alu instid0(VALU_DEP_4) | instskip(NEXT) | instid1(VALU_DEP_4)
	v_cvt_pk_f16_f32 v1, v0, v1
	v_cvt_pk_f16_f32 v0, v2, v3
	s_delay_alu instid0(VALU_DEP_4) | instskip(NEXT) | instid1(VALU_DEP_4)
	v_cvt_pk_f16_f32 v3, v6, v7
	v_cvt_pk_f16_f32 v2, v4, v5
	s_set_vgpr_msb 1                        ;  msbs: dst=0 src0=1 src1=0 src2=0
	global_store_b128 v26 /*v282*/, v[0:3], s[16:17] scale_offset
	s_wait_xcnt 0x0
	s_or_b32 exec_lo, exec_lo, s1
	s_and_saveexec_b32 s1, s11
	s_set_vgpr_msb 0                        ;  msbs: dst=0 src0=0 src1=0 src2=0
	s_cbranch_execz .LBB25_53
.LBB25_62:
	s_mov_b32 s2, s20
	s_mov_b32 s3, s20
	v_mov_b64_e32 v[4:5], s[20:21]
	v_mov_b64_e32 v[6:7], s[2:3]
	v_dual_sub_f32 v1, v69, v77 :: v_dual_sub_f32 v0, v68, v76
	v_dual_sub_f32 v3, v71, v79 :: v_dual_sub_f32 v2, v70, v78
	;; [unrolled: 1-line block ×4, first 2 shown]
	s_delay_alu instid0(VALU_DEP_4) | instskip(NEXT) | instid1(VALU_DEP_4)
	v_pk_mul_f32 v[0:1], v[6:7], v[0:1]
	v_pk_mul_f32 v[2:3], v[4:5], v[2:3]
	s_delay_alu instid0(VALU_DEP_4) | instskip(NEXT) | instid1(VALU_DEP_4)
	v_pk_mul_f32 v[6:7], v[6:7], v[8:9]
	v_pk_mul_f32 v[4:5], v[4:5], v[10:11]
	s_delay_alu instid0(VALU_DEP_4) | instskip(NEXT) | instid1(VALU_DEP_4)
	v_cvt_pk_f16_f32 v1, v0, v1
	v_cvt_pk_f16_f32 v0, v2, v3
	s_delay_alu instid0(VALU_DEP_4) | instskip(NEXT) | instid1(VALU_DEP_4)
	v_cvt_pk_f16_f32 v3, v6, v7
	v_cvt_pk_f16_f32 v2, v4, v5
	s_set_vgpr_msb 1                        ;  msbs: dst=0 src0=1 src1=0 src2=0
	global_store_b128 v27 /*v283*/, v[0:3], s[16:17] scale_offset
	s_wait_xcnt 0x0
	s_or_b32 exec_lo, exec_lo, s1
	s_and_saveexec_b32 s1, s12
	s_set_vgpr_msb 0                        ;  msbs: dst=0 src0=0 src1=0 src2=0
	s_cbranch_execz .LBB25_54
.LBB25_63:
	s_mov_b32 s2, s20
	s_mov_b32 s3, s20
	v_mov_b64_e32 v[4:5], s[20:21]
	v_mov_b64_e32 v[6:7], s[2:3]
	v_dual_sub_f32 v1, v85, v93 :: v_dual_sub_f32 v0, v84, v92
	v_dual_sub_f32 v3, v87, v95 :: v_dual_sub_f32 v2, v86, v94
	;; [unrolled: 1-line block ×4, first 2 shown]
	s_delay_alu instid0(VALU_DEP_4) | instskip(NEXT) | instid1(VALU_DEP_4)
	v_pk_mul_f32 v[0:1], v[6:7], v[0:1]
	v_pk_mul_f32 v[2:3], v[4:5], v[2:3]
	s_delay_alu instid0(VALU_DEP_4) | instskip(NEXT) | instid1(VALU_DEP_4)
	v_pk_mul_f32 v[6:7], v[6:7], v[8:9]
	v_pk_mul_f32 v[4:5], v[4:5], v[10:11]
	s_delay_alu instid0(VALU_DEP_4) | instskip(NEXT) | instid1(VALU_DEP_4)
	v_cvt_pk_f16_f32 v1, v0, v1
	v_cvt_pk_f16_f32 v0, v2, v3
	s_delay_alu instid0(VALU_DEP_4) | instskip(NEXT) | instid1(VALU_DEP_4)
	v_cvt_pk_f16_f32 v3, v6, v7
	v_cvt_pk_f16_f32 v2, v4, v5
	s_set_vgpr_msb 1                        ;  msbs: dst=0 src0=1 src1=0 src2=0
	global_store_b128 v29 /*v285*/, v[0:3], s[16:17] scale_offset
	s_wait_xcnt 0x0
	s_or_b32 exec_lo, exec_lo, s1
	s_and_saveexec_b32 s1, s0
	s_set_vgpr_msb 0                        ;  msbs: dst=0 src0=0 src1=0 src2=0
	s_cbranch_execz .LBB25_55
.LBB25_64:
	v_mov_b64_e32 v[4:5], s[20:21]
	s_mov_b32 s21, s20
	v_dual_sub_f32 v1, v101, v109 :: v_dual_sub_f32 v0, v100, v108
	v_mov_b64_e32 v[8:9], s[20:21]
	v_dual_sub_f32 v3, v103, v111 :: v_dual_sub_f32 v2, v102, v110
	v_dual_sub_f32 v7, v97, v105 :: v_dual_sub_f32 v6, v96, v104
	;; [unrolled: 1-line block ×3, first 2 shown]
	s_delay_alu instid0(VALU_DEP_4) | instskip(NEXT) | instid1(VALU_DEP_4)
	v_pk_mul_f32 v[0:1], v[8:9], v[0:1]
	v_pk_mul_f32 v[2:3], v[4:5], v[2:3]
	s_delay_alu instid0(VALU_DEP_4) | instskip(NEXT) | instid1(VALU_DEP_4)
	v_pk_mul_f32 v[6:7], v[8:9], v[6:7]
	v_pk_mul_f32 v[4:5], v[4:5], v[10:11]
	s_delay_alu instid0(VALU_DEP_4) | instskip(NEXT) | instid1(VALU_DEP_4)
	v_cvt_pk_f16_f32 v1, v0, v1
	v_cvt_pk_f16_f32 v0, v2, v3
	s_delay_alu instid0(VALU_DEP_4) | instskip(NEXT) | instid1(VALU_DEP_4)
	v_cvt_pk_f16_f32 v3, v6, v7
	v_cvt_pk_f16_f32 v2, v4, v5
	s_set_vgpr_msb 1                        ;  msbs: dst=0 src0=1 src1=0 src2=0
	global_store_b128 v30 /*v286*/, v[0:3], s[16:17] scale_offset
	s_sendmsg sendmsg(MSG_DEALLOC_VGPRS)
	s_endpgm
	.section	.rodata,"a",@progbits
	.p2align	6, 0x0
	.amdhsa_kernel _Z30fast_hadamard_transform_kernelI37fast_hadamard_transform_kernel_traitsILi256ELi15E6__halfEEv18HadamardParamsBase
		.amdhsa_group_segment_fixed_size 0
		.amdhsa_private_segment_fixed_size 0
		.amdhsa_kernarg_size 312
		.amdhsa_user_sgpr_count 2
		.amdhsa_user_sgpr_dispatch_ptr 0
		.amdhsa_user_sgpr_queue_ptr 0
		.amdhsa_user_sgpr_kernarg_segment_ptr 1
		.amdhsa_user_sgpr_dispatch_id 0
		.amdhsa_user_sgpr_kernarg_preload_length 0
		.amdhsa_user_sgpr_kernarg_preload_offset 0
		.amdhsa_user_sgpr_private_segment_size 0
		.amdhsa_wavefront_size32 1
		.amdhsa_uses_dynamic_stack 0
		.amdhsa_enable_private_segment 0
		.amdhsa_system_sgpr_workgroup_id_x 1
		.amdhsa_system_sgpr_workgroup_id_y 0
		.amdhsa_system_sgpr_workgroup_id_z 0
		.amdhsa_system_sgpr_workgroup_info 0
		.amdhsa_system_vgpr_workitem_id 0
		.amdhsa_next_free_vgpr 289
		.amdhsa_next_free_sgpr 30
		.amdhsa_named_barrier_count 0
		.amdhsa_reserve_vcc 1
		.amdhsa_float_round_mode_32 0
		.amdhsa_float_round_mode_16_64 0
		.amdhsa_float_denorm_mode_32 3
		.amdhsa_float_denorm_mode_16_64 3
		.amdhsa_fp16_overflow 0
		.amdhsa_memory_ordered 1
		.amdhsa_forward_progress 1
		.amdhsa_inst_pref_size 252
		.amdhsa_round_robin_scheduling 0
		.amdhsa_exception_fp_ieee_invalid_op 0
		.amdhsa_exception_fp_denorm_src 0
		.amdhsa_exception_fp_ieee_div_zero 0
		.amdhsa_exception_fp_ieee_overflow 0
		.amdhsa_exception_fp_ieee_underflow 0
		.amdhsa_exception_fp_ieee_inexact 0
		.amdhsa_exception_int_div_zero 0
	.end_amdhsa_kernel
	.section	.text._Z30fast_hadamard_transform_kernelI37fast_hadamard_transform_kernel_traitsILi256ELi15E6__halfEEv18HadamardParamsBase,"axG",@progbits,_Z30fast_hadamard_transform_kernelI37fast_hadamard_transform_kernel_traitsILi256ELi15E6__halfEEv18HadamardParamsBase,comdat
.Lfunc_end25:
	.size	_Z30fast_hadamard_transform_kernelI37fast_hadamard_transform_kernel_traitsILi256ELi15E6__halfEEv18HadamardParamsBase, .Lfunc_end25-_Z30fast_hadamard_transform_kernelI37fast_hadamard_transform_kernel_traitsILi256ELi15E6__halfEEv18HadamardParamsBase
                                        ; -- End function
	.set _Z30fast_hadamard_transform_kernelI37fast_hadamard_transform_kernel_traitsILi256ELi15E6__halfEEv18HadamardParamsBase.num_vgpr, 289
	.set _Z30fast_hadamard_transform_kernelI37fast_hadamard_transform_kernel_traitsILi256ELi15E6__halfEEv18HadamardParamsBase.num_agpr, 0
	.set _Z30fast_hadamard_transform_kernelI37fast_hadamard_transform_kernel_traitsILi256ELi15E6__halfEEv18HadamardParamsBase.numbered_sgpr, 30
	.set _Z30fast_hadamard_transform_kernelI37fast_hadamard_transform_kernel_traitsILi256ELi15E6__halfEEv18HadamardParamsBase.num_named_barrier, 0
	.set _Z30fast_hadamard_transform_kernelI37fast_hadamard_transform_kernel_traitsILi256ELi15E6__halfEEv18HadamardParamsBase.private_seg_size, 0
	.set _Z30fast_hadamard_transform_kernelI37fast_hadamard_transform_kernel_traitsILi256ELi15E6__halfEEv18HadamardParamsBase.uses_vcc, 1
	.set _Z30fast_hadamard_transform_kernelI37fast_hadamard_transform_kernel_traitsILi256ELi15E6__halfEEv18HadamardParamsBase.uses_flat_scratch, 0
	.set _Z30fast_hadamard_transform_kernelI37fast_hadamard_transform_kernel_traitsILi256ELi15E6__halfEEv18HadamardParamsBase.has_dyn_sized_stack, 0
	.set _Z30fast_hadamard_transform_kernelI37fast_hadamard_transform_kernel_traitsILi256ELi15E6__halfEEv18HadamardParamsBase.has_recursion, 0
	.set _Z30fast_hadamard_transform_kernelI37fast_hadamard_transform_kernel_traitsILi256ELi15E6__halfEEv18HadamardParamsBase.has_indirect_call, 0
	.section	.AMDGPU.csdata,"",@progbits
; Kernel info:
; codeLenInByte = 32216
; TotalNumSgprs: 32
; NumVgprs: 289
; ScratchSize: 0
; MemoryBound: 0
; FloatMode: 240
; IeeeMode: 1
; LDSByteSize: 0 bytes/workgroup (compile time only)
; SGPRBlocks: 0
; VGPRBlocks: 18
; NumSGPRsForWavesPerEU: 32
; NumVGPRsForWavesPerEU: 289
; NamedBarCnt: 0
; Occupancy: 3
; WaveLimiterHint : 0
; COMPUTE_PGM_RSRC2:SCRATCH_EN: 0
; COMPUTE_PGM_RSRC2:USER_SGPR: 2
; COMPUTE_PGM_RSRC2:TRAP_HANDLER: 0
; COMPUTE_PGM_RSRC2:TGID_X_EN: 1
; COMPUTE_PGM_RSRC2:TGID_Y_EN: 0
; COMPUTE_PGM_RSRC2:TGID_Z_EN: 0
; COMPUTE_PGM_RSRC2:TIDIG_COMP_CNT: 0
	.section	.text._Z30fast_hadamard_transform_kernelI37fast_hadamard_transform_kernel_traitsILi1ELi3E14__hip_bfloat16EEv18HadamardParamsBase,"axG",@progbits,_Z30fast_hadamard_transform_kernelI37fast_hadamard_transform_kernel_traitsILi1ELi3E14__hip_bfloat16EEv18HadamardParamsBase,comdat
	.protected	_Z30fast_hadamard_transform_kernelI37fast_hadamard_transform_kernel_traitsILi1ELi3E14__hip_bfloat16EEv18HadamardParamsBase ; -- Begin function _Z30fast_hadamard_transform_kernelI37fast_hadamard_transform_kernel_traitsILi1ELi3E14__hip_bfloat16EEv18HadamardParamsBase
	.globl	_Z30fast_hadamard_transform_kernelI37fast_hadamard_transform_kernel_traitsILi1ELi3E14__hip_bfloat16EEv18HadamardParamsBase
	.p2align	8
	.type	_Z30fast_hadamard_transform_kernelI37fast_hadamard_transform_kernel_traitsILi1ELi3E14__hip_bfloat16EEv18HadamardParamsBase,@function
_Z30fast_hadamard_transform_kernelI37fast_hadamard_transform_kernel_traitsILi1ELi3E14__hip_bfloat16EEv18HadamardParamsBase: ; @_Z30fast_hadamard_transform_kernelI37fast_hadamard_transform_kernel_traitsILi1ELi3E14__hip_bfloat16EEv18HadamardParamsBase
; %bb.0:
	s_load_b32 s2, s[0:1], 0x4
	s_wait_kmcnt 0x0
	s_cmp_eq_u32 s2, 0
	s_cbranch_scc1 .LBB26_2
; %bb.1:
	s_clause 0x1
	s_load_b128 s[8:11], s[0:1], 0x10
	s_load_b128 s[4:7], s[0:1], 0x28
	s_bfe_u32 s2, ttmp6, 0x4000c
	s_and_b32 s3, ttmp6, 15
	s_add_co_i32 s2, s2, 1
	s_getreg_b32 s12, hwreg(HW_REG_IB_STS2, 6, 4)
	s_mul_i32 s2, ttmp9, s2
	s_load_b32 s14, s[0:1], 0x20
	s_add_co_i32 s3, s3, s2
	s_cmp_eq_u32 s12, 0
	s_cselect_b32 s12, ttmp9, s3
	s_delay_alu instid0(SALU_CYCLE_1) | instskip(SKIP_2) | instid1(SALU_CYCLE_1)
	s_ashr_i32 s13, s12, 31
	s_wait_kmcnt 0x0
	s_mul_u64 s[0:1], s[8:9], s[12:13]
	s_lshl_b64 s[0:1], s[0:1], 1
	s_delay_alu instid0(SALU_CYCLE_1)
	s_add_nc_u64 s[0:1], s[4:5], s[0:1]
	s_load_b128 s[0:3], s[0:1], 0x0
	s_wait_kmcnt 0x0
	s_lshl_b32 s4, s0, 16
	s_and_b32 s5, s0, 0xffff0000
	s_lshl_b32 s8, s1, 16
	s_and_b32 s9, s1, 0xffff0000
	;; [unrolled: 2-line block ×4, first 2 shown]
	s_sub_f32 s0, s4, s5
	s_add_f32 s1, s4, s5
	s_sub_f32 s2, s8, s9
	s_add_f32 s3, s8, s9
	s_sub_f32 s4, s15, s16
	s_add_f32 s5, s15, s16
	s_sub_f32 s8, s17, s18
	s_add_f32 s9, s17, s18
	v_mov_b64_e32 v[0:1], s[0:1]
	v_mov_b64_e32 v[2:3], s[2:3]
	;; [unrolled: 1-line block ×4, first 2 shown]
	s_mul_u64 s[0:1], s[10:11], s[12:13]
	s_delay_alu instid0(SALU_CYCLE_1) | instskip(NEXT) | instid1(VALU_DEP_3)
	s_lshl_b64 s[0:1], s[0:1], 1
	v_pk_add_f32 v[8:9], v[0:1], v[2:3]
	v_pk_add_f32 v[0:1], v[0:1], v[2:3] neg_lo:[0,1] neg_hi:[0,1]
	s_delay_alu instid0(VALU_DEP_3) | instskip(SKIP_2) | instid1(VALU_DEP_3)
	v_pk_add_f32 v[2:3], v[4:5], v[6:7]
	v_pk_add_f32 v[4:5], v[4:5], v[6:7] neg_lo:[0,1] neg_hi:[0,1]
	s_add_nc_u64 s[0:1], s[6:7], s[0:1]
	v_dual_mov_b32 v6, v8 :: v_dual_mov_b32 v7, v1
	s_delay_alu instid0(VALU_DEP_2) | instskip(NEXT) | instid1(VALU_DEP_1)
	v_dual_mov_b32 v10, v2 :: v_dual_mov_b32 v11, v5
	v_pk_add_f32 v[6:7], v[6:7], v[10:11]
	v_dual_add_f32 v10, v9, v3 :: v_dual_mov_b32 v11, 0
	v_pk_add_f32 v[2:3], v[8:9], v[2:3] neg_lo:[0,1] neg_hi:[0,1]
	v_pk_add_f32 v[8:9], v[0:1], v[4:5] neg_lo:[0,1] neg_hi:[0,1]
	s_delay_alu instid0(VALU_DEP_4) | instskip(NEXT) | instid1(VALU_DEP_3)
	v_pk_mul_f32 v[6:7], s[14:15], v[6:7] op_sel_hi:[0,1]
	v_pk_mul_f32 v[2:3], s[14:15], v[2:3] op_sel:[0,1] op_sel_hi:[0,0]
	s_delay_alu instid0(VALU_DEP_2)
	v_cvt_pk_bf16_f32 v6, v6, v7
	v_fma_mixlo_bf16 v7, s14, v10, 0
	v_add_f32_e32 v0, v0, v4
	v_pk_mul_f32 v[4:5], s[14:15], v[8:9] op_sel:[0,1] op_sel_hi:[0,0]
	v_cvt_pk_bf16_f32 v2, v2, v3
	v_lshrrev_b32_e32 v1, 16, v6
	v_and_b32_e32 v7, 0xffff, v7
	s_delay_alu instid0(VALU_DEP_4) | instskip(NEXT) | instid1(VALU_DEP_3)
	v_cvt_pk_bf16_f32 v3, v4, v5
	v_fma_mixhi_bf16 v1, s14, v0, 0
	s_delay_alu instid0(VALU_DEP_3)
	v_lshl_or_b32 v0, v6, 16, v7
	global_store_b128 v11, v[0:3], s[0:1]
.LBB26_2:
	s_endpgm
	.section	.rodata,"a",@progbits
	.p2align	6, 0x0
	.amdhsa_kernel _Z30fast_hadamard_transform_kernelI37fast_hadamard_transform_kernel_traitsILi1ELi3E14__hip_bfloat16EEv18HadamardParamsBase
		.amdhsa_group_segment_fixed_size 0
		.amdhsa_private_segment_fixed_size 0
		.amdhsa_kernarg_size 56
		.amdhsa_user_sgpr_count 2
		.amdhsa_user_sgpr_dispatch_ptr 0
		.amdhsa_user_sgpr_queue_ptr 0
		.amdhsa_user_sgpr_kernarg_segment_ptr 1
		.amdhsa_user_sgpr_dispatch_id 0
		.amdhsa_user_sgpr_kernarg_preload_length 0
		.amdhsa_user_sgpr_kernarg_preload_offset 0
		.amdhsa_user_sgpr_private_segment_size 0
		.amdhsa_wavefront_size32 1
		.amdhsa_uses_dynamic_stack 0
		.amdhsa_enable_private_segment 0
		.amdhsa_system_sgpr_workgroup_id_x 1
		.amdhsa_system_sgpr_workgroup_id_y 0
		.amdhsa_system_sgpr_workgroup_id_z 0
		.amdhsa_system_sgpr_workgroup_info 0
		.amdhsa_system_vgpr_workitem_id 0
		.amdhsa_next_free_vgpr 12
		.amdhsa_next_free_sgpr 19
		.amdhsa_named_barrier_count 0
		.amdhsa_reserve_vcc 0
		.amdhsa_float_round_mode_32 0
		.amdhsa_float_round_mode_16_64 0
		.amdhsa_float_denorm_mode_32 3
		.amdhsa_float_denorm_mode_16_64 3
		.amdhsa_fp16_overflow 0
		.amdhsa_memory_ordered 1
		.amdhsa_forward_progress 1
		.amdhsa_inst_pref_size 4
		.amdhsa_round_robin_scheduling 0
		.amdhsa_exception_fp_ieee_invalid_op 0
		.amdhsa_exception_fp_denorm_src 0
		.amdhsa_exception_fp_ieee_div_zero 0
		.amdhsa_exception_fp_ieee_overflow 0
		.amdhsa_exception_fp_ieee_underflow 0
		.amdhsa_exception_fp_ieee_inexact 0
		.amdhsa_exception_int_div_zero 0
	.end_amdhsa_kernel
	.section	.text._Z30fast_hadamard_transform_kernelI37fast_hadamard_transform_kernel_traitsILi1ELi3E14__hip_bfloat16EEv18HadamardParamsBase,"axG",@progbits,_Z30fast_hadamard_transform_kernelI37fast_hadamard_transform_kernel_traitsILi1ELi3E14__hip_bfloat16EEv18HadamardParamsBase,comdat
.Lfunc_end26:
	.size	_Z30fast_hadamard_transform_kernelI37fast_hadamard_transform_kernel_traitsILi1ELi3E14__hip_bfloat16EEv18HadamardParamsBase, .Lfunc_end26-_Z30fast_hadamard_transform_kernelI37fast_hadamard_transform_kernel_traitsILi1ELi3E14__hip_bfloat16EEv18HadamardParamsBase
                                        ; -- End function
	.set _Z30fast_hadamard_transform_kernelI37fast_hadamard_transform_kernel_traitsILi1ELi3E14__hip_bfloat16EEv18HadamardParamsBase.num_vgpr, 12
	.set _Z30fast_hadamard_transform_kernelI37fast_hadamard_transform_kernel_traitsILi1ELi3E14__hip_bfloat16EEv18HadamardParamsBase.num_agpr, 0
	.set _Z30fast_hadamard_transform_kernelI37fast_hadamard_transform_kernel_traitsILi1ELi3E14__hip_bfloat16EEv18HadamardParamsBase.numbered_sgpr, 19
	.set _Z30fast_hadamard_transform_kernelI37fast_hadamard_transform_kernel_traitsILi1ELi3E14__hip_bfloat16EEv18HadamardParamsBase.num_named_barrier, 0
	.set _Z30fast_hadamard_transform_kernelI37fast_hadamard_transform_kernel_traitsILi1ELi3E14__hip_bfloat16EEv18HadamardParamsBase.private_seg_size, 0
	.set _Z30fast_hadamard_transform_kernelI37fast_hadamard_transform_kernel_traitsILi1ELi3E14__hip_bfloat16EEv18HadamardParamsBase.uses_vcc, 0
	.set _Z30fast_hadamard_transform_kernelI37fast_hadamard_transform_kernel_traitsILi1ELi3E14__hip_bfloat16EEv18HadamardParamsBase.uses_flat_scratch, 0
	.set _Z30fast_hadamard_transform_kernelI37fast_hadamard_transform_kernel_traitsILi1ELi3E14__hip_bfloat16EEv18HadamardParamsBase.has_dyn_sized_stack, 0
	.set _Z30fast_hadamard_transform_kernelI37fast_hadamard_transform_kernel_traitsILi1ELi3E14__hip_bfloat16EEv18HadamardParamsBase.has_recursion, 0
	.set _Z30fast_hadamard_transform_kernelI37fast_hadamard_transform_kernel_traitsILi1ELi3E14__hip_bfloat16EEv18HadamardParamsBase.has_indirect_call, 0
	.section	.AMDGPU.csdata,"",@progbits
; Kernel info:
; codeLenInByte = 444
; TotalNumSgprs: 19
; NumVgprs: 12
; ScratchSize: 0
; MemoryBound: 0
; FloatMode: 240
; IeeeMode: 1
; LDSByteSize: 0 bytes/workgroup (compile time only)
; SGPRBlocks: 0
; VGPRBlocks: 0
; NumSGPRsForWavesPerEU: 19
; NumVGPRsForWavesPerEU: 12
; NamedBarCnt: 0
; Occupancy: 16
; WaveLimiterHint : 0
; COMPUTE_PGM_RSRC2:SCRATCH_EN: 0
; COMPUTE_PGM_RSRC2:USER_SGPR: 2
; COMPUTE_PGM_RSRC2:TRAP_HANDLER: 0
; COMPUTE_PGM_RSRC2:TGID_X_EN: 1
; COMPUTE_PGM_RSRC2:TGID_Y_EN: 0
; COMPUTE_PGM_RSRC2:TGID_Z_EN: 0
; COMPUTE_PGM_RSRC2:TIDIG_COMP_CNT: 0
	.section	.text._Z30fast_hadamard_transform_kernelI37fast_hadamard_transform_kernel_traitsILi2ELi4E14__hip_bfloat16EEv18HadamardParamsBase,"axG",@progbits,_Z30fast_hadamard_transform_kernelI37fast_hadamard_transform_kernel_traitsILi2ELi4E14__hip_bfloat16EEv18HadamardParamsBase,comdat
	.protected	_Z30fast_hadamard_transform_kernelI37fast_hadamard_transform_kernel_traitsILi2ELi4E14__hip_bfloat16EEv18HadamardParamsBase ; -- Begin function _Z30fast_hadamard_transform_kernelI37fast_hadamard_transform_kernel_traitsILi2ELi4E14__hip_bfloat16EEv18HadamardParamsBase
	.globl	_Z30fast_hadamard_transform_kernelI37fast_hadamard_transform_kernel_traitsILi2ELi4E14__hip_bfloat16EEv18HadamardParamsBase
	.p2align	8
	.type	_Z30fast_hadamard_transform_kernelI37fast_hadamard_transform_kernel_traitsILi2ELi4E14__hip_bfloat16EEv18HadamardParamsBase,@function
_Z30fast_hadamard_transform_kernelI37fast_hadamard_transform_kernel_traitsILi2ELi4E14__hip_bfloat16EEv18HadamardParamsBase: ; @_Z30fast_hadamard_transform_kernelI37fast_hadamard_transform_kernel_traitsILi2ELi4E14__hip_bfloat16EEv18HadamardParamsBase
; %bb.0:
	s_load_b32 s2, s[0:1], 0x4
	s_bfe_u32 s4, ttmp6, 0x4000c
	v_dual_mov_b32 v2, 0 :: v_dual_mov_b32 v4, 0
	s_add_co_i32 s4, s4, 1
	v_lshlrev_b32_e32 v1, 3, v0
	s_and_b32 s3, ttmp6, 15
	s_mul_i32 s4, ttmp9, s4
	s_getreg_b32 s5, hwreg(HW_REG_IB_STS2, 6, 4)
	s_add_co_i32 s3, s3, s4
	s_cmp_eq_u32 s5, 0
	v_dual_mov_b32 v3, v2 :: v_dual_mov_b32 v5, v2
	v_dual_mov_b32 v6, v2 :: v_dual_mov_b32 v8, v2
	;; [unrolled: 1-line block ×3, first 2 shown]
	s_cselect_b32 s4, ttmp9, s3
	s_delay_alu instid0(SALU_CYCLE_1)
	s_ashr_i32 s5, s4, 31
	s_wait_kmcnt 0x0
	v_cmp_gt_u32_e32 vcc_lo, s2, v1
	s_and_saveexec_b32 s2, vcc_lo
	s_cbranch_execz .LBB27_2
; %bb.1:
	s_clause 0x1
	s_load_b64 s[6:7], s[0:1], 0x10
	s_load_b64 s[8:9], s[0:1], 0x28
	s_wait_kmcnt 0x0
	s_mul_u64 s[6:7], s[6:7], s[4:5]
	s_delay_alu instid0(SALU_CYCLE_1) | instskip(NEXT) | instid1(SALU_CYCLE_1)
	s_lshl_b64 s[6:7], s[6:7], 1
	s_add_nc_u64 s[6:7], s[8:9], s[6:7]
	global_load_b128 v[2:5], v0, s[6:7] scale_offset
	s_wait_loadcnt 0x0
	v_dual_lshlrev_b32 v6, 16, v2 :: v_dual_lshlrev_b32 v7, 16, v3
	v_and_b32_e32 v8, 0xffff0000, v2
	v_and_b32_e32 v9, 0xffff0000, v3
	v_dual_lshlrev_b32 v2, 16, v4 :: v_dual_lshlrev_b32 v3, 16, v5
	v_and_b32_e32 v4, 0xffff0000, v4
	v_and_b32_e32 v5, 0xffff0000, v5
.LBB27_2:
	s_or_b32 exec_lo, exec_lo, s2
	v_pk_add_f32 v[10:11], v[8:9], v[6:7]
	s_delay_alu instid0(VALU_DEP_2) | instskip(SKIP_2) | instid1(VALU_DEP_4)
	v_pk_add_f32 v[12:13], v[4:5], v[2:3]
	v_mbcnt_lo_u32_b32 v1, -1, 0
	v_dual_sub_f32 v7, v7, v9 :: v_dual_sub_f32 v9, v6, v8
	v_dual_sub_f32 v3, v3, v5 :: v_dual_mov_b32 v8, v10
	v_dual_mov_b32 v6, v11 :: v_dual_sub_f32 v5, v2, v4
	v_dual_mov_b32 v4, v12 :: v_dual_mov_b32 v2, v13
	v_dual_sub_f32 v16, v10, v11 :: v_dual_bitop2_b32 v18, 1, v1 bitop3:0x14
	s_delay_alu instid0(VALU_DEP_3) | instskip(SKIP_1) | instid1(VALU_DEP_4)
	v_pk_add_f32 v[14:15], v[6:7], v[8:9]
	v_sub_f32_e32 v17, v9, v7
	v_pk_add_f32 v[8:9], v[2:3], v[4:5]
	s_delay_alu instid0(VALU_DEP_4) | instskip(NEXT) | instid1(VALU_DEP_2)
	v_cmp_gt_i32_e64 s2, 32, v18
	v_dual_sub_f32 v2, v12, v13 :: v_dual_sub_f32 v10, v14, v8
	s_delay_alu instid0(VALU_DEP_2) | instskip(SKIP_2) | instid1(VALU_DEP_4)
	v_cndmask_b32_e64 v1, v1, v18, s2
	v_sub_f32_e32 v3, v5, v3
	v_pk_add_f32 v[6:7], v[8:9], v[14:15]
	v_dual_sub_f32 v13, v15, v9 :: v_dual_sub_f32 v14, v16, v2
	s_delay_alu instid0(VALU_DEP_4) | instskip(NEXT) | instid1(VALU_DEP_4)
	v_lshlrev_b32_e32 v18, 2, v1
	v_pk_add_f32 v[8:9], v[2:3], v[16:17]
	v_sub_f32_e32 v15, v17, v3
	ds_bpermute_b32 v4, v18, v6
	ds_bpermute_b32 v5, v18, v7
	;; [unrolled: 1-line block ×8, first 2 shown]
	s_and_saveexec_b32 s2, vcc_lo
	s_cbranch_execz .LBB27_4
; %bb.3:
	s_load_b96 s[8:10], s[0:1], 0x18
	v_cmp_eq_u32_e32 vcc_lo, 0, v0
	s_wait_xcnt 0x0
	s_load_b64 s[0:1], s[0:1], 0x30
	v_dual_cndmask_b32 v15, -v15, v15, vcc_lo :: v_dual_cndmask_b32 v14, -v14, v14, vcc_lo
	v_dual_cndmask_b32 v10, -v10, v10, vcc_lo :: v_dual_cndmask_b32 v9, -v9, v9, vcc_lo
	s_wait_dscnt 0x0
	s_delay_alu instid0(VALU_DEP_2) | instskip(SKIP_1) | instid1(VALU_DEP_2)
	v_dual_cndmask_b32 v13, -v13, v13, vcc_lo :: v_dual_add_f32 v15, v15, v16
	v_dual_cndmask_b32 v7, -v7, v7, vcc_lo :: v_dual_cndmask_b32 v6, -v6, v6, vcc_lo
	v_dual_cndmask_b32 v8, -v8, v8, vcc_lo :: v_dual_add_f32 v11, v13, v11
	v_add_f32_e32 v12, v14, v12
	s_delay_alu instid0(VALU_DEP_3) | instskip(NEXT) | instid1(VALU_DEP_3)
	v_pk_add_f32 v[4:5], v[6:7], v[4:5]
	v_pk_add_f32 v[2:3], v[8:9], v[2:3]
	s_wait_kmcnt 0x0
	v_dual_mul_f32 v8, s10, v15 :: v_dual_add_f32 v1, v10, v1
	v_mul_f32_e32 v9, s10, v12
	s_mov_b32 s2, s10
	v_mul_f32_e32 v10, s10, v11
	v_pk_mul_f32 v[2:3], s[2:3], v[2:3] op_sel_hi:[0,1]
	v_pk_mul_f32 v[6:7], s[2:3], v[4:5] op_sel_hi:[0,1]
	v_mul_f32_e32 v1, s10, v1
	s_mul_u64 s[2:3], s[8:9], s[4:5]
	v_cvt_pk_bf16_f32 v5, v9, v8
	v_cvt_pk_bf16_f32 v3, v2, v3
	;; [unrolled: 1-line block ×4, first 2 shown]
	s_lshl_b64 s[2:3], s[2:3], 1
	s_delay_alu instid0(SALU_CYCLE_1)
	s_add_nc_u64 s[0:1], s[0:1], s[2:3]
	global_store_b128 v0, v[2:5], s[0:1] scale_offset
.LBB27_4:
	s_endpgm
	.section	.rodata,"a",@progbits
	.p2align	6, 0x0
	.amdhsa_kernel _Z30fast_hadamard_transform_kernelI37fast_hadamard_transform_kernel_traitsILi2ELi4E14__hip_bfloat16EEv18HadamardParamsBase
		.amdhsa_group_segment_fixed_size 0
		.amdhsa_private_segment_fixed_size 0
		.amdhsa_kernarg_size 56
		.amdhsa_user_sgpr_count 2
		.amdhsa_user_sgpr_dispatch_ptr 0
		.amdhsa_user_sgpr_queue_ptr 0
		.amdhsa_user_sgpr_kernarg_segment_ptr 1
		.amdhsa_user_sgpr_dispatch_id 0
		.amdhsa_user_sgpr_kernarg_preload_length 0
		.amdhsa_user_sgpr_kernarg_preload_offset 0
		.amdhsa_user_sgpr_private_segment_size 0
		.amdhsa_wavefront_size32 1
		.amdhsa_uses_dynamic_stack 0
		.amdhsa_enable_private_segment 0
		.amdhsa_system_sgpr_workgroup_id_x 1
		.amdhsa_system_sgpr_workgroup_id_y 0
		.amdhsa_system_sgpr_workgroup_id_z 0
		.amdhsa_system_sgpr_workgroup_info 0
		.amdhsa_system_vgpr_workitem_id 0
		.amdhsa_next_free_vgpr 19
		.amdhsa_next_free_sgpr 11
		.amdhsa_named_barrier_count 0
		.amdhsa_reserve_vcc 1
		.amdhsa_float_round_mode_32 0
		.amdhsa_float_round_mode_16_64 0
		.amdhsa_float_denorm_mode_32 3
		.amdhsa_float_denorm_mode_16_64 3
		.amdhsa_fp16_overflow 0
		.amdhsa_memory_ordered 1
		.amdhsa_forward_progress 1
		.amdhsa_inst_pref_size 6
		.amdhsa_round_robin_scheduling 0
		.amdhsa_exception_fp_ieee_invalid_op 0
		.amdhsa_exception_fp_denorm_src 0
		.amdhsa_exception_fp_ieee_div_zero 0
		.amdhsa_exception_fp_ieee_overflow 0
		.amdhsa_exception_fp_ieee_underflow 0
		.amdhsa_exception_fp_ieee_inexact 0
		.amdhsa_exception_int_div_zero 0
	.end_amdhsa_kernel
	.section	.text._Z30fast_hadamard_transform_kernelI37fast_hadamard_transform_kernel_traitsILi2ELi4E14__hip_bfloat16EEv18HadamardParamsBase,"axG",@progbits,_Z30fast_hadamard_transform_kernelI37fast_hadamard_transform_kernel_traitsILi2ELi4E14__hip_bfloat16EEv18HadamardParamsBase,comdat
.Lfunc_end27:
	.size	_Z30fast_hadamard_transform_kernelI37fast_hadamard_transform_kernel_traitsILi2ELi4E14__hip_bfloat16EEv18HadamardParamsBase, .Lfunc_end27-_Z30fast_hadamard_transform_kernelI37fast_hadamard_transform_kernel_traitsILi2ELi4E14__hip_bfloat16EEv18HadamardParamsBase
                                        ; -- End function
	.set _Z30fast_hadamard_transform_kernelI37fast_hadamard_transform_kernel_traitsILi2ELi4E14__hip_bfloat16EEv18HadamardParamsBase.num_vgpr, 19
	.set _Z30fast_hadamard_transform_kernelI37fast_hadamard_transform_kernel_traitsILi2ELi4E14__hip_bfloat16EEv18HadamardParamsBase.num_agpr, 0
	.set _Z30fast_hadamard_transform_kernelI37fast_hadamard_transform_kernel_traitsILi2ELi4E14__hip_bfloat16EEv18HadamardParamsBase.numbered_sgpr, 11
	.set _Z30fast_hadamard_transform_kernelI37fast_hadamard_transform_kernel_traitsILi2ELi4E14__hip_bfloat16EEv18HadamardParamsBase.num_named_barrier, 0
	.set _Z30fast_hadamard_transform_kernelI37fast_hadamard_transform_kernel_traitsILi2ELi4E14__hip_bfloat16EEv18HadamardParamsBase.private_seg_size, 0
	.set _Z30fast_hadamard_transform_kernelI37fast_hadamard_transform_kernel_traitsILi2ELi4E14__hip_bfloat16EEv18HadamardParamsBase.uses_vcc, 1
	.set _Z30fast_hadamard_transform_kernelI37fast_hadamard_transform_kernel_traitsILi2ELi4E14__hip_bfloat16EEv18HadamardParamsBase.uses_flat_scratch, 0
	.set _Z30fast_hadamard_transform_kernelI37fast_hadamard_transform_kernel_traitsILi2ELi4E14__hip_bfloat16EEv18HadamardParamsBase.has_dyn_sized_stack, 0
	.set _Z30fast_hadamard_transform_kernelI37fast_hadamard_transform_kernel_traitsILi2ELi4E14__hip_bfloat16EEv18HadamardParamsBase.has_recursion, 0
	.set _Z30fast_hadamard_transform_kernelI37fast_hadamard_transform_kernel_traitsILi2ELi4E14__hip_bfloat16EEv18HadamardParamsBase.has_indirect_call, 0
	.section	.AMDGPU.csdata,"",@progbits
; Kernel info:
; codeLenInByte = 712
; TotalNumSgprs: 13
; NumVgprs: 19
; ScratchSize: 0
; MemoryBound: 0
; FloatMode: 240
; IeeeMode: 1
; LDSByteSize: 0 bytes/workgroup (compile time only)
; SGPRBlocks: 0
; VGPRBlocks: 1
; NumSGPRsForWavesPerEU: 13
; NumVGPRsForWavesPerEU: 19
; NamedBarCnt: 0
; Occupancy: 16
; WaveLimiterHint : 0
; COMPUTE_PGM_RSRC2:SCRATCH_EN: 0
; COMPUTE_PGM_RSRC2:USER_SGPR: 2
; COMPUTE_PGM_RSRC2:TRAP_HANDLER: 0
; COMPUTE_PGM_RSRC2:TGID_X_EN: 1
; COMPUTE_PGM_RSRC2:TGID_Y_EN: 0
; COMPUTE_PGM_RSRC2:TGID_Z_EN: 0
; COMPUTE_PGM_RSRC2:TIDIG_COMP_CNT: 0
	.section	.text._Z30fast_hadamard_transform_kernelI37fast_hadamard_transform_kernel_traitsILi4ELi5E14__hip_bfloat16EEv18HadamardParamsBase,"axG",@progbits,_Z30fast_hadamard_transform_kernelI37fast_hadamard_transform_kernel_traitsILi4ELi5E14__hip_bfloat16EEv18HadamardParamsBase,comdat
	.protected	_Z30fast_hadamard_transform_kernelI37fast_hadamard_transform_kernel_traitsILi4ELi5E14__hip_bfloat16EEv18HadamardParamsBase ; -- Begin function _Z30fast_hadamard_transform_kernelI37fast_hadamard_transform_kernel_traitsILi4ELi5E14__hip_bfloat16EEv18HadamardParamsBase
	.globl	_Z30fast_hadamard_transform_kernelI37fast_hadamard_transform_kernel_traitsILi4ELi5E14__hip_bfloat16EEv18HadamardParamsBase
	.p2align	8
	.type	_Z30fast_hadamard_transform_kernelI37fast_hadamard_transform_kernel_traitsILi4ELi5E14__hip_bfloat16EEv18HadamardParamsBase,@function
_Z30fast_hadamard_transform_kernelI37fast_hadamard_transform_kernel_traitsILi4ELi5E14__hip_bfloat16EEv18HadamardParamsBase: ; @_Z30fast_hadamard_transform_kernelI37fast_hadamard_transform_kernel_traitsILi4ELi5E14__hip_bfloat16EEv18HadamardParamsBase
; %bb.0:
	s_load_b32 s2, s[0:1], 0x4
	s_bfe_u32 s4, ttmp6, 0x4000c
	v_dual_mov_b32 v2, 0 :: v_dual_lshlrev_b32 v1, 3, v0
	s_add_co_i32 s4, s4, 1
	s_and_b32 s3, ttmp6, 15
	s_mul_i32 s4, ttmp9, s4
	s_getreg_b32 s5, hwreg(HW_REG_IB_STS2, 6, 4)
	s_add_co_i32 s3, s3, s4
	s_cmp_eq_u32 s5, 0
	v_dual_mov_b32 v3, v2 :: v_dual_mov_b32 v4, v2
	v_dual_mov_b32 v5, v2 :: v_dual_mov_b32 v6, v2
	;; [unrolled: 1-line block ×3, first 2 shown]
	v_mov_b32_e32 v9, v2
	s_cselect_b32 s4, ttmp9, s3
	s_delay_alu instid0(SALU_CYCLE_1)
	s_ashr_i32 s5, s4, 31
	s_wait_kmcnt 0x0
	v_cmp_gt_u32_e32 vcc_lo, s2, v1
	s_and_saveexec_b32 s2, vcc_lo
	s_cbranch_execz .LBB28_2
; %bb.1:
	s_clause 0x1
	s_load_b64 s[6:7], s[0:1], 0x10
	s_load_b64 s[8:9], s[0:1], 0x28
	s_wait_kmcnt 0x0
	s_mul_u64 s[6:7], s[6:7], s[4:5]
	s_delay_alu instid0(SALU_CYCLE_1) | instskip(NEXT) | instid1(SALU_CYCLE_1)
	s_lshl_b64 s[6:7], s[6:7], 1
	s_add_nc_u64 s[6:7], s[8:9], s[6:7]
	global_load_b128 v[10:13], v0, s[6:7] scale_offset
	s_wait_loadcnt 0x0
	v_dual_lshlrev_b32 v8, 16, v10 :: v_dual_lshlrev_b32 v6, 16, v11
	v_and_b32_e32 v9, 0xffff0000, v10
	v_and_b32_e32 v7, 0xffff0000, v11
	v_dual_lshlrev_b32 v4, 16, v12 :: v_dual_lshlrev_b32 v2, 16, v13
	v_and_b32_e32 v5, 0xffff0000, v12
	v_and_b32_e32 v3, 0xffff0000, v13
.LBB28_2:
	s_or_b32 exec_lo, exec_lo, s2
	v_mbcnt_lo_u32_b32 v1, -1, 0
	v_pk_add_f32 v[10:11], v[8:9], v[8:9] op_sel_hi:[0,1] neg_lo:[0,1] neg_hi:[0,1]
	v_add_f32_e32 v10, v8, v9
	v_pk_add_f32 v[8:9], v[6:7], v[6:7] op_sel_hi:[0,1] neg_lo:[0,1] neg_hi:[0,1]
	v_add_f32_e32 v8, v6, v7
	;; [unrolled: 2-line block ×3, first 2 shown]
	v_xor_b32_e32 v4, 1, v1
	v_pk_add_f32 v[12:13], v[2:3], v[2:3] op_sel_hi:[0,1] neg_lo:[0,1] neg_hi:[0,1]
	v_add_f32_e32 v12, v2, v3
	v_pk_add_f32 v[2:3], v[10:11], v[8:9] neg_lo:[0,1] neg_hi:[0,1]
	v_pk_add_f32 v[8:9], v[8:9], v[10:11]
	v_cmp_gt_i32_e64 s2, 32, v4
	s_delay_alu instid0(VALU_DEP_1) | instskip(SKIP_2) | instid1(VALU_DEP_2)
	v_cndmask_b32_e64 v14, v1, v4, s2
	v_pk_add_f32 v[4:5], v[6:7], v[12:13] neg_lo:[0,1] neg_hi:[0,1]
	v_pk_add_f32 v[6:7], v[12:13], v[6:7]
	v_pk_add_f32 v[10:11], v[4:5], v[2:3]
	v_and_b32_e32 v18, 1, v0
	s_delay_alu instid0(VALU_DEP_3) | instskip(SKIP_2) | instid1(VALU_DEP_4)
	v_pk_add_f32 v[12:13], v[6:7], v[8:9]
	v_pk_add_f32 v[4:5], v[2:3], v[4:5] neg_lo:[0,1] neg_hi:[0,1]
	v_pk_add_f32 v[6:7], v[8:9], v[6:7] neg_lo:[0,1] neg_hi:[0,1]
	v_cmp_eq_u32_e64 s2, 0, v18
	s_delay_alu instid0(VALU_DEP_1)
	v_dual_cndmask_b32 v3, -v11, v11, s2 :: v_dual_lshlrev_b32 v16, 2, v14
	v_cndmask_b32_e64 v2, -v10, v10, s2
	ds_bpermute_b32 v14, v16, v10
	ds_bpermute_b32 v15, v16, v11
	;; [unrolled: 1-line block ×8, first 2 shown]
	v_dual_cndmask_b32 v10, -v12, v12, s2 :: v_dual_bitop2_b32 v12, 2, v1 bitop3:0x14
	v_dual_cndmask_b32 v6, -v6, v6, s2 :: v_dual_cndmask_b32 v7, -v7, v7, s2
	s_delay_alu instid0(VALU_DEP_2) | instskip(NEXT) | instid1(VALU_DEP_1)
	v_cmp_gt_i32_e64 s3, 32, v12
	v_cndmask_b32_e64 v1, v1, v12, s3
	v_cndmask_b32_e64 v12, -v4, v4, s2
	s_wait_dscnt 0x6
	v_pk_add_f32 v[2:3], v[2:3], v[14:15]
	s_wait_dscnt 0x5
	v_add_f32_e32 v11, v10, v17
	v_cndmask_b32_e64 v10, -v13, v13, s2
	v_cndmask_b32_e64 v15, -v5, v5, s2
	s_wait_dscnt 0x1
	v_dual_add_f32 v14, v12, v19 :: v_dual_lshlrev_b32 v17, 2, v1
	v_pk_add_f32 v[4:5], v[6:7], v[8:9]
	s_wait_dscnt 0x0
	v_dual_add_f32 v13, v10, v18 :: v_dual_add_f32 v15, v15, v16
	ds_bpermute_b32 v1, v17, v11
	ds_bpermute_b32 v8, v17, v2
	ds_bpermute_b32 v9, v17, v3
	ds_bpermute_b32 v10, v17, v13
	ds_bpermute_b32 v6, v17, v4
	ds_bpermute_b32 v7, v17, v5
	ds_bpermute_b32 v12, v17, v14
	ds_bpermute_b32 v16, v17, v15
	s_and_saveexec_b32 s2, vcc_lo
	s_cbranch_execz .LBB28_4
; %bb.3:
	v_and_b32_e32 v17, 2, v0
	s_load_b96 s[8:10], s[0:1], 0x18
	s_delay_alu instid0(VALU_DEP_1)
	v_cmp_eq_u32_e32 vcc_lo, 0, v17
	s_wait_xcnt 0x0
	s_load_b64 s[0:1], s[0:1], 0x30
	v_dual_cndmask_b32 v15, -v15, v15, vcc_lo :: v_dual_cndmask_b32 v13, -v13, v13, vcc_lo
	v_cndmask_b32_e64 v11, -v11, v11, vcc_lo
	v_dual_cndmask_b32 v3, -v3, v3, vcc_lo :: v_dual_cndmask_b32 v2, -v2, v2, vcc_lo
	s_wait_dscnt 0x0
	s_delay_alu instid0(VALU_DEP_3) | instskip(SKIP_2) | instid1(VALU_DEP_3)
	v_dual_add_f32 v15, v15, v16 :: v_dual_cndmask_b32 v14, -v14, v14, vcc_lo
	v_dual_cndmask_b32 v5, -v5, v5, vcc_lo :: v_dual_cndmask_b32 v4, -v4, v4, vcc_lo
	v_dual_add_f32 v1, v11, v1 :: v_dual_add_f32 v10, v13, v10
	v_add_f32_e32 v12, v14, v12
	v_pk_add_f32 v[2:3], v[2:3], v[8:9]
	s_delay_alu instid0(VALU_DEP_4)
	v_pk_add_f32 v[4:5], v[4:5], v[6:7]
	s_wait_kmcnt 0x0
	s_mov_b32 s2, s10
	v_dual_mul_f32 v6, s10, v15 :: v_dual_mul_f32 v7, s10, v12
	v_mul_f32_e32 v8, s10, v10
	v_pk_mul_f32 v[2:3], s[2:3], v[2:3] op_sel_hi:[0,1]
	v_pk_mul_f32 v[4:5], s[2:3], v[4:5] op_sel_hi:[0,1]
	v_mul_f32_e32 v1, s10, v1
	s_mul_u64 s[2:3], s[8:9], s[4:5]
	s_delay_alu instid0(VALU_DEP_3) | instskip(NEXT) | instid1(VALU_DEP_3)
	v_cvt_pk_bf16_f32 v3, v2, v3
	v_cvt_pk_bf16_f32 v4, v4, v5
	;; [unrolled: 1-line block ×4, first 2 shown]
	s_lshl_b64 s[2:3], s[2:3], 1
	s_delay_alu instid0(SALU_CYCLE_1)
	s_add_nc_u64 s[0:1], s[0:1], s[2:3]
	global_store_b128 v0, v[2:5], s[0:1] scale_offset
.LBB28_4:
	s_endpgm
	.section	.rodata,"a",@progbits
	.p2align	6, 0x0
	.amdhsa_kernel _Z30fast_hadamard_transform_kernelI37fast_hadamard_transform_kernel_traitsILi4ELi5E14__hip_bfloat16EEv18HadamardParamsBase
		.amdhsa_group_segment_fixed_size 0
		.amdhsa_private_segment_fixed_size 0
		.amdhsa_kernarg_size 56
		.amdhsa_user_sgpr_count 2
		.amdhsa_user_sgpr_dispatch_ptr 0
		.amdhsa_user_sgpr_queue_ptr 0
		.amdhsa_user_sgpr_kernarg_segment_ptr 1
		.amdhsa_user_sgpr_dispatch_id 0
		.amdhsa_user_sgpr_kernarg_preload_length 0
		.amdhsa_user_sgpr_kernarg_preload_offset 0
		.amdhsa_user_sgpr_private_segment_size 0
		.amdhsa_wavefront_size32 1
		.amdhsa_uses_dynamic_stack 0
		.amdhsa_enable_private_segment 0
		.amdhsa_system_sgpr_workgroup_id_x 1
		.amdhsa_system_sgpr_workgroup_id_y 0
		.amdhsa_system_sgpr_workgroup_id_z 0
		.amdhsa_system_sgpr_workgroup_info 0
		.amdhsa_system_vgpr_workitem_id 0
		.amdhsa_next_free_vgpr 20
		.amdhsa_next_free_sgpr 11
		.amdhsa_named_barrier_count 0
		.amdhsa_reserve_vcc 1
		.amdhsa_float_round_mode_32 0
		.amdhsa_float_round_mode_16_64 0
		.amdhsa_float_denorm_mode_32 3
		.amdhsa_float_denorm_mode_16_64 3
		.amdhsa_fp16_overflow 0
		.amdhsa_memory_ordered 1
		.amdhsa_forward_progress 1
		.amdhsa_inst_pref_size 8
		.amdhsa_round_robin_scheduling 0
		.amdhsa_exception_fp_ieee_invalid_op 0
		.amdhsa_exception_fp_denorm_src 0
		.amdhsa_exception_fp_ieee_div_zero 0
		.amdhsa_exception_fp_ieee_overflow 0
		.amdhsa_exception_fp_ieee_underflow 0
		.amdhsa_exception_fp_ieee_inexact 0
		.amdhsa_exception_int_div_zero 0
	.end_amdhsa_kernel
	.section	.text._Z30fast_hadamard_transform_kernelI37fast_hadamard_transform_kernel_traitsILi4ELi5E14__hip_bfloat16EEv18HadamardParamsBase,"axG",@progbits,_Z30fast_hadamard_transform_kernelI37fast_hadamard_transform_kernel_traitsILi4ELi5E14__hip_bfloat16EEv18HadamardParamsBase,comdat
.Lfunc_end28:
	.size	_Z30fast_hadamard_transform_kernelI37fast_hadamard_transform_kernel_traitsILi4ELi5E14__hip_bfloat16EEv18HadamardParamsBase, .Lfunc_end28-_Z30fast_hadamard_transform_kernelI37fast_hadamard_transform_kernel_traitsILi4ELi5E14__hip_bfloat16EEv18HadamardParamsBase
                                        ; -- End function
	.set _Z30fast_hadamard_transform_kernelI37fast_hadamard_transform_kernel_traitsILi4ELi5E14__hip_bfloat16EEv18HadamardParamsBase.num_vgpr, 20
	.set _Z30fast_hadamard_transform_kernelI37fast_hadamard_transform_kernel_traitsILi4ELi5E14__hip_bfloat16EEv18HadamardParamsBase.num_agpr, 0
	.set _Z30fast_hadamard_transform_kernelI37fast_hadamard_transform_kernel_traitsILi4ELi5E14__hip_bfloat16EEv18HadamardParamsBase.numbered_sgpr, 11
	.set _Z30fast_hadamard_transform_kernelI37fast_hadamard_transform_kernel_traitsILi4ELi5E14__hip_bfloat16EEv18HadamardParamsBase.num_named_barrier, 0
	.set _Z30fast_hadamard_transform_kernelI37fast_hadamard_transform_kernel_traitsILi4ELi5E14__hip_bfloat16EEv18HadamardParamsBase.private_seg_size, 0
	.set _Z30fast_hadamard_transform_kernelI37fast_hadamard_transform_kernel_traitsILi4ELi5E14__hip_bfloat16EEv18HadamardParamsBase.uses_vcc, 1
	.set _Z30fast_hadamard_transform_kernelI37fast_hadamard_transform_kernel_traitsILi4ELi5E14__hip_bfloat16EEv18HadamardParamsBase.uses_flat_scratch, 0
	.set _Z30fast_hadamard_transform_kernelI37fast_hadamard_transform_kernel_traitsILi4ELi5E14__hip_bfloat16EEv18HadamardParamsBase.has_dyn_sized_stack, 0
	.set _Z30fast_hadamard_transform_kernelI37fast_hadamard_transform_kernel_traitsILi4ELi5E14__hip_bfloat16EEv18HadamardParamsBase.has_recursion, 0
	.set _Z30fast_hadamard_transform_kernelI37fast_hadamard_transform_kernel_traitsILi4ELi5E14__hip_bfloat16EEv18HadamardParamsBase.has_indirect_call, 0
	.section	.AMDGPU.csdata,"",@progbits
; Kernel info:
; codeLenInByte = 900
; TotalNumSgprs: 13
; NumVgprs: 20
; ScratchSize: 0
; MemoryBound: 0
; FloatMode: 240
; IeeeMode: 1
; LDSByteSize: 0 bytes/workgroup (compile time only)
; SGPRBlocks: 0
; VGPRBlocks: 1
; NumSGPRsForWavesPerEU: 13
; NumVGPRsForWavesPerEU: 20
; NamedBarCnt: 0
; Occupancy: 16
; WaveLimiterHint : 0
; COMPUTE_PGM_RSRC2:SCRATCH_EN: 0
; COMPUTE_PGM_RSRC2:USER_SGPR: 2
; COMPUTE_PGM_RSRC2:TRAP_HANDLER: 0
; COMPUTE_PGM_RSRC2:TGID_X_EN: 1
; COMPUTE_PGM_RSRC2:TGID_Y_EN: 0
; COMPUTE_PGM_RSRC2:TGID_Z_EN: 0
; COMPUTE_PGM_RSRC2:TIDIG_COMP_CNT: 0
	.section	.text._Z30fast_hadamard_transform_kernelI37fast_hadamard_transform_kernel_traitsILi8ELi6E14__hip_bfloat16EEv18HadamardParamsBase,"axG",@progbits,_Z30fast_hadamard_transform_kernelI37fast_hadamard_transform_kernel_traitsILi8ELi6E14__hip_bfloat16EEv18HadamardParamsBase,comdat
	.protected	_Z30fast_hadamard_transform_kernelI37fast_hadamard_transform_kernel_traitsILi8ELi6E14__hip_bfloat16EEv18HadamardParamsBase ; -- Begin function _Z30fast_hadamard_transform_kernelI37fast_hadamard_transform_kernel_traitsILi8ELi6E14__hip_bfloat16EEv18HadamardParamsBase
	.globl	_Z30fast_hadamard_transform_kernelI37fast_hadamard_transform_kernel_traitsILi8ELi6E14__hip_bfloat16EEv18HadamardParamsBase
	.p2align	8
	.type	_Z30fast_hadamard_transform_kernelI37fast_hadamard_transform_kernel_traitsILi8ELi6E14__hip_bfloat16EEv18HadamardParamsBase,@function
_Z30fast_hadamard_transform_kernelI37fast_hadamard_transform_kernel_traitsILi8ELi6E14__hip_bfloat16EEv18HadamardParamsBase: ; @_Z30fast_hadamard_transform_kernelI37fast_hadamard_transform_kernel_traitsILi8ELi6E14__hip_bfloat16EEv18HadamardParamsBase
; %bb.0:
	s_load_b32 s2, s[0:1], 0x4
	s_bfe_u32 s4, ttmp6, 0x4000c
	v_dual_mov_b32 v7, 0 :: v_dual_lshlrev_b32 v8, 3, v0
	s_add_co_i32 s4, s4, 1
	s_and_b32 s3, ttmp6, 15
	s_mul_i32 s4, ttmp9, s4
	s_getreg_b32 s5, hwreg(HW_REG_IB_STS2, 6, 4)
	s_add_co_i32 s3, s3, s4
	s_cmp_eq_u32 s5, 0
	v_dual_mov_b32 v1, 0 :: v_dual_mov_b32 v4, 0
	v_dual_mov_b32 v2, 0 :: v_dual_mov_b32 v3, 0
	;; [unrolled: 1-line block ×3, first 2 shown]
	s_cselect_b32 s4, ttmp9, s3
	s_delay_alu instid0(SALU_CYCLE_1)
	s_ashr_i32 s5, s4, 31
	s_wait_kmcnt 0x0
	v_cmp_gt_u32_e32 vcc_lo, s2, v8
	v_mov_b32_e32 v8, 0
	s_and_saveexec_b32 s2, vcc_lo
	s_cbranch_execz .LBB29_2
; %bb.1:
	s_clause 0x1
	s_load_b64 s[6:7], s[0:1], 0x10
	s_load_b64 s[8:9], s[0:1], 0x28
	s_wait_kmcnt 0x0
	s_mul_u64 s[6:7], s[6:7], s[4:5]
	s_delay_alu instid0(SALU_CYCLE_1) | instskip(NEXT) | instid1(SALU_CYCLE_1)
	s_lshl_b64 s[6:7], s[6:7], 1
	s_add_nc_u64 s[6:7], s[8:9], s[6:7]
	global_load_b128 v[8:11], v0, s[6:7] scale_offset
	s_wait_loadcnt 0x0
	v_dual_lshlrev_b32 v7, 16, v8 :: v_dual_lshlrev_b32 v5, 16, v9
	v_and_b32_e32 v8, 0xffff0000, v8
	v_and_b32_e32 v6, 0xffff0000, v9
	v_dual_lshlrev_b32 v2, 16, v10 :: v_dual_lshlrev_b32 v1, 16, v11
	v_and_b32_e32 v3, 0xffff0000, v10
	v_and_b32_e32 v4, 0xffff0000, v11
.LBB29_2:
	s_or_b32 exec_lo, exec_lo, s2
	v_mbcnt_lo_u32_b32 v18, -1, 0
	v_dual_add_f32 v10, v6, v5 :: v_dual_add_f32 v12, v8, v7
	v_dual_sub_f32 v11, v5, v6 :: v_dual_sub_f32 v13, v7, v8
	s_delay_alu instid0(VALU_DEP_3) | instskip(SKIP_2) | instid1(VALU_DEP_3)
	v_dual_add_f32 v6, v4, v1 :: v_dual_bitop2_b32 v5, 1, v18 bitop3:0x14
	v_dual_add_f32 v8, v3, v2 :: v_dual_sub_f32 v7, v1, v4
	v_sub_f32_e32 v9, v2, v3
	v_cmp_gt_i32_e64 s2, 32, v5
	v_pk_add_f32 v[2:3], v[10:11], v[12:13]
	s_delay_alu instid0(VALU_DEP_4) | instskip(NEXT) | instid1(VALU_DEP_3)
	v_dual_sub_f32 v4, v13, v11 :: v_dual_sub_f32 v13, v8, v6
	v_dual_cndmask_b32 v1, v18, v5, s2 :: v_dual_bitop2_b32 v19, 1, v0 bitop3:0x40
	v_sub_f32_e32 v5, v12, v10
	v_pk_add_f32 v[10:11], v[6:7], v[8:9]
	v_dual_sub_f32 v12, v9, v7 :: v_dual_bitop2_b32 v20, 2, v18 bitop3:0x14
	s_delay_alu instid0(VALU_DEP_4) | instskip(SKIP_1) | instid1(VALU_DEP_4)
	v_lshlrev_b32_e32 v1, 2, v1
	v_cmp_eq_u32_e64 s2, 0, v19
	v_pk_add_f32 v[6:7], v[10:11], v[2:3] op_sel:[1,1] op_sel_hi:[0,0]
	s_delay_alu instid0(VALU_DEP_4)
	v_pk_add_f32 v[8:9], v[12:13], v[4:5]
	v_dual_sub_f32 v10, v2, v10 :: v_dual_sub_f32 v12, v4, v12
	v_sub_f32_e32 v11, v3, v11
	ds_bpermute_b32 v14, v1, v7
	ds_bpermute_b32 v15, v1, v6
	;; [unrolled: 1-line block ×4, first 2 shown]
	v_cmp_gt_i32_e64 s3, 32, v20
	v_sub_f32_e32 v13, v5, v13
	ds_bpermute_b32 v21, v1, v11
	v_dual_cndmask_b32 v3, -v6, v6, s2 :: v_dual_cndmask_b32 v2, -v7, v7, s2
	v_cndmask_b32_e64 v19, v18, v20, s3
	ds_bpermute_b32 v20, v1, v10
	ds_bpermute_b32 v22, v1, v13
	;; [unrolled: 1-line block ×3, first 2 shown]
	v_dual_cndmask_b32 v5, -v8, v8, s2 :: v_dual_cndmask_b32 v4, -v9, v9, s2
	v_dual_lshlrev_b32 v19, 2, v19 :: v_dual_cndmask_b32 v10, -v10, v10, s2
	v_dual_cndmask_b32 v11, -v11, v11, s2 :: v_dual_cndmask_b32 v13, -v13, v13, s2
	v_cndmask_b32_e64 v12, -v12, v12, s2
	s_wait_dscnt 0x6
	v_pk_add_f32 v[2:3], v[2:3], v[14:15]
	v_and_b32_e32 v14, 2, v0
	s_wait_dscnt 0x4
	v_pk_add_f32 v[4:5], v[4:5], v[16:17]
	ds_bpermute_b32 v8, v19, v2
	ds_bpermute_b32 v9, v19, v3
	ds_bpermute_b32 v6, v19, v4
	ds_bpermute_b32 v7, v19, v5
	s_wait_dscnt 0x6
	v_dual_add_f32 v11, v11, v21 :: v_dual_add_f32 v10, v10, v20
	s_wait_dscnt 0x4
	v_dual_add_f32 v1, v12, v1 :: v_dual_add_f32 v13, v13, v22
	v_cmp_eq_u32_e64 s2, 0, v14
	ds_bpermute_b32 v14, v19, v11
	ds_bpermute_b32 v12, v19, v10
	;; [unrolled: 1-line block ×4, first 2 shown]
	v_dual_cndmask_b32 v3, -v3, v3, s2 :: v_dual_cndmask_b32 v5, -v5, v5, s2
	v_dual_cndmask_b32 v4, -v4, v4, s2 :: v_dual_cndmask_b32 v2, -v2, v2, s2
	v_xor_b32_e32 v17, 4, v18
	s_wait_dscnt 0x4
	s_delay_alu instid0(VALU_DEP_2) | instskip(NEXT) | instid1(VALU_DEP_3)
	v_pk_add_f32 v[6:7], v[4:5], v[6:7]
	v_pk_add_f32 v[4:5], v[2:3], v[8:9]
	v_dual_cndmask_b32 v3, -v10, v10, s2 :: v_dual_cndmask_b32 v9, -v13, v13, s2
	v_cndmask_b32_e64 v8, -v11, v11, s2
	v_cmp_gt_i32_e64 s3, 32, v17
	s_wait_dscnt 0x2
	s_delay_alu instid0(VALU_DEP_2) | instskip(SKIP_1) | instid1(VALU_DEP_2)
	v_dual_add_f32 v11, v3, v12 :: v_dual_add_f32 v13, v8, v14
	s_wait_dscnt 0x0
	v_dual_add_f32 v14, v9, v15 :: v_dual_cndmask_b32 v2, v18, v17, s3
	s_delay_alu instid0(VALU_DEP_1) | instskip(NEXT) | instid1(VALU_DEP_1)
	v_dual_cndmask_b32 v1, -v1, v1, s2 :: v_dual_lshlrev_b32 v17, 2, v2
	v_add_f32_e32 v15, v1, v16
	ds_bpermute_b32 v2, v17, v4
	ds_bpermute_b32 v3, v17, v5
	;; [unrolled: 1-line block ×8, first 2 shown]
	s_and_saveexec_b32 s2, vcc_lo
	s_cbranch_execz .LBB29_4
; %bb.3:
	v_and_b32_e32 v17, 4, v0
	s_load_b96 s[8:10], s[0:1], 0x18
	s_delay_alu instid0(VALU_DEP_1)
	v_cmp_eq_u32_e32 vcc_lo, 0, v17
	s_wait_xcnt 0x0
	s_load_b64 s[0:1], s[0:1], 0x30
	v_dual_cndmask_b32 v15, -v15, v15, vcc_lo :: v_dual_cndmask_b32 v13, -v13, v13, vcc_lo
	v_cndmask_b32_e64 v11, -v11, v11, vcc_lo
	v_dual_cndmask_b32 v7, -v7, v7, vcc_lo :: v_dual_cndmask_b32 v6, -v6, v6, vcc_lo
	s_wait_dscnt 0x0
	s_delay_alu instid0(VALU_DEP_3) | instskip(SKIP_2) | instid1(VALU_DEP_3)
	v_dual_add_f32 v15, v15, v16 :: v_dual_cndmask_b32 v14, -v14, v14, vcc_lo
	v_dual_cndmask_b32 v5, -v5, v5, vcc_lo :: v_dual_cndmask_b32 v4, -v4, v4, vcc_lo
	v_dual_add_f32 v1, v11, v1 :: v_dual_add_f32 v10, v13, v10
	v_add_f32_e32 v12, v14, v12
	v_pk_add_f32 v[6:7], v[6:7], v[8:9]
	s_delay_alu instid0(VALU_DEP_4)
	v_pk_add_f32 v[2:3], v[4:5], v[2:3]
	s_wait_kmcnt 0x0
	s_mov_b32 s2, s10
	v_dual_mul_f32 v8, s10, v15 :: v_dual_mul_f32 v9, s10, v12
	v_mul_f32_e32 v10, s10, v10
	v_pk_mul_f32 v[4:5], s[2:3], v[6:7] op_sel_hi:[0,1]
	v_pk_mul_f32 v[6:7], s[2:3], v[2:3] op_sel_hi:[0,1]
	v_mul_f32_e32 v1, s10, v1
	s_mul_u64 s[2:3], s[8:9], s[4:5]
	s_delay_alu instid0(VALU_DEP_3) | instskip(NEXT) | instid1(VALU_DEP_3)
	v_cvt_pk_bf16_f32 v3, v4, v5
	v_cvt_pk_bf16_f32 v2, v6, v7
	;; [unrolled: 1-line block ×4, first 2 shown]
	s_lshl_b64 s[2:3], s[2:3], 1
	s_delay_alu instid0(SALU_CYCLE_1)
	s_add_nc_u64 s[0:1], s[0:1], s[2:3]
	global_store_b128 v0, v[2:5], s[0:1] scale_offset
.LBB29_4:
	s_endpgm
	.section	.rodata,"a",@progbits
	.p2align	6, 0x0
	.amdhsa_kernel _Z30fast_hadamard_transform_kernelI37fast_hadamard_transform_kernel_traitsILi8ELi6E14__hip_bfloat16EEv18HadamardParamsBase
		.amdhsa_group_segment_fixed_size 0
		.amdhsa_private_segment_fixed_size 0
		.amdhsa_kernarg_size 56
		.amdhsa_user_sgpr_count 2
		.amdhsa_user_sgpr_dispatch_ptr 0
		.amdhsa_user_sgpr_queue_ptr 0
		.amdhsa_user_sgpr_kernarg_segment_ptr 1
		.amdhsa_user_sgpr_dispatch_id 0
		.amdhsa_user_sgpr_kernarg_preload_length 0
		.amdhsa_user_sgpr_kernarg_preload_offset 0
		.amdhsa_user_sgpr_private_segment_size 0
		.amdhsa_wavefront_size32 1
		.amdhsa_uses_dynamic_stack 0
		.amdhsa_enable_private_segment 0
		.amdhsa_system_sgpr_workgroup_id_x 1
		.amdhsa_system_sgpr_workgroup_id_y 0
		.amdhsa_system_sgpr_workgroup_id_z 0
		.amdhsa_system_sgpr_workgroup_info 0
		.amdhsa_system_vgpr_workitem_id 0
		.amdhsa_next_free_vgpr 23
		.amdhsa_next_free_sgpr 11
		.amdhsa_named_barrier_count 0
		.amdhsa_reserve_vcc 1
		.amdhsa_float_round_mode_32 0
		.amdhsa_float_round_mode_16_64 0
		.amdhsa_float_denorm_mode_32 3
		.amdhsa_float_denorm_mode_16_64 3
		.amdhsa_fp16_overflow 0
		.amdhsa_memory_ordered 1
		.amdhsa_forward_progress 1
		.amdhsa_inst_pref_size 9
		.amdhsa_round_robin_scheduling 0
		.amdhsa_exception_fp_ieee_invalid_op 0
		.amdhsa_exception_fp_denorm_src 0
		.amdhsa_exception_fp_ieee_div_zero 0
		.amdhsa_exception_fp_ieee_overflow 0
		.amdhsa_exception_fp_ieee_underflow 0
		.amdhsa_exception_fp_ieee_inexact 0
		.amdhsa_exception_int_div_zero 0
	.end_amdhsa_kernel
	.section	.text._Z30fast_hadamard_transform_kernelI37fast_hadamard_transform_kernel_traitsILi8ELi6E14__hip_bfloat16EEv18HadamardParamsBase,"axG",@progbits,_Z30fast_hadamard_transform_kernelI37fast_hadamard_transform_kernel_traitsILi8ELi6E14__hip_bfloat16EEv18HadamardParamsBase,comdat
.Lfunc_end29:
	.size	_Z30fast_hadamard_transform_kernelI37fast_hadamard_transform_kernel_traitsILi8ELi6E14__hip_bfloat16EEv18HadamardParamsBase, .Lfunc_end29-_Z30fast_hadamard_transform_kernelI37fast_hadamard_transform_kernel_traitsILi8ELi6E14__hip_bfloat16EEv18HadamardParamsBase
                                        ; -- End function
	.set _Z30fast_hadamard_transform_kernelI37fast_hadamard_transform_kernel_traitsILi8ELi6E14__hip_bfloat16EEv18HadamardParamsBase.num_vgpr, 23
	.set _Z30fast_hadamard_transform_kernelI37fast_hadamard_transform_kernel_traitsILi8ELi6E14__hip_bfloat16EEv18HadamardParamsBase.num_agpr, 0
	.set _Z30fast_hadamard_transform_kernelI37fast_hadamard_transform_kernel_traitsILi8ELi6E14__hip_bfloat16EEv18HadamardParamsBase.numbered_sgpr, 11
	.set _Z30fast_hadamard_transform_kernelI37fast_hadamard_transform_kernel_traitsILi8ELi6E14__hip_bfloat16EEv18HadamardParamsBase.num_named_barrier, 0
	.set _Z30fast_hadamard_transform_kernelI37fast_hadamard_transform_kernel_traitsILi8ELi6E14__hip_bfloat16EEv18HadamardParamsBase.private_seg_size, 0
	.set _Z30fast_hadamard_transform_kernelI37fast_hadamard_transform_kernel_traitsILi8ELi6E14__hip_bfloat16EEv18HadamardParamsBase.uses_vcc, 1
	.set _Z30fast_hadamard_transform_kernelI37fast_hadamard_transform_kernel_traitsILi8ELi6E14__hip_bfloat16EEv18HadamardParamsBase.uses_flat_scratch, 0
	.set _Z30fast_hadamard_transform_kernelI37fast_hadamard_transform_kernel_traitsILi8ELi6E14__hip_bfloat16EEv18HadamardParamsBase.has_dyn_sized_stack, 0
	.set _Z30fast_hadamard_transform_kernelI37fast_hadamard_transform_kernel_traitsILi8ELi6E14__hip_bfloat16EEv18HadamardParamsBase.has_recursion, 0
	.set _Z30fast_hadamard_transform_kernelI37fast_hadamard_transform_kernel_traitsILi8ELi6E14__hip_bfloat16EEv18HadamardParamsBase.has_indirect_call, 0
	.section	.AMDGPU.csdata,"",@progbits
; Kernel info:
; codeLenInByte = 1108
; TotalNumSgprs: 13
; NumVgprs: 23
; ScratchSize: 0
; MemoryBound: 0
; FloatMode: 240
; IeeeMode: 1
; LDSByteSize: 0 bytes/workgroup (compile time only)
; SGPRBlocks: 0
; VGPRBlocks: 1
; NumSGPRsForWavesPerEU: 13
; NumVGPRsForWavesPerEU: 23
; NamedBarCnt: 0
; Occupancy: 16
; WaveLimiterHint : 0
; COMPUTE_PGM_RSRC2:SCRATCH_EN: 0
; COMPUTE_PGM_RSRC2:USER_SGPR: 2
; COMPUTE_PGM_RSRC2:TRAP_HANDLER: 0
; COMPUTE_PGM_RSRC2:TGID_X_EN: 1
; COMPUTE_PGM_RSRC2:TGID_Y_EN: 0
; COMPUTE_PGM_RSRC2:TGID_Z_EN: 0
; COMPUTE_PGM_RSRC2:TIDIG_COMP_CNT: 0
	.section	.text._Z30fast_hadamard_transform_kernelI37fast_hadamard_transform_kernel_traitsILi16ELi7E14__hip_bfloat16EEv18HadamardParamsBase,"axG",@progbits,_Z30fast_hadamard_transform_kernelI37fast_hadamard_transform_kernel_traitsILi16ELi7E14__hip_bfloat16EEv18HadamardParamsBase,comdat
	.protected	_Z30fast_hadamard_transform_kernelI37fast_hadamard_transform_kernel_traitsILi16ELi7E14__hip_bfloat16EEv18HadamardParamsBase ; -- Begin function _Z30fast_hadamard_transform_kernelI37fast_hadamard_transform_kernel_traitsILi16ELi7E14__hip_bfloat16EEv18HadamardParamsBase
	.globl	_Z30fast_hadamard_transform_kernelI37fast_hadamard_transform_kernel_traitsILi16ELi7E14__hip_bfloat16EEv18HadamardParamsBase
	.p2align	8
	.type	_Z30fast_hadamard_transform_kernelI37fast_hadamard_transform_kernel_traitsILi16ELi7E14__hip_bfloat16EEv18HadamardParamsBase,@function
_Z30fast_hadamard_transform_kernelI37fast_hadamard_transform_kernel_traitsILi16ELi7E14__hip_bfloat16EEv18HadamardParamsBase: ; @_Z30fast_hadamard_transform_kernelI37fast_hadamard_transform_kernel_traitsILi16ELi7E14__hip_bfloat16EEv18HadamardParamsBase
; %bb.0:
	s_load_b32 s2, s[0:1], 0x4
	s_bfe_u32 s4, ttmp6, 0x4000c
	v_dual_mov_b32 v2, 0 :: v_dual_lshlrev_b32 v1, 3, v0
	s_add_co_i32 s4, s4, 1
	s_and_b32 s3, ttmp6, 15
	s_mul_i32 s4, ttmp9, s4
	s_getreg_b32 s5, hwreg(HW_REG_IB_STS2, 6, 4)
	s_add_co_i32 s3, s3, s4
	s_cmp_eq_u32 s5, 0
	v_dual_mov_b32 v3, v2 :: v_dual_mov_b32 v4, v2
	v_dual_mov_b32 v5, v2 :: v_dual_mov_b32 v6, v2
	;; [unrolled: 1-line block ×3, first 2 shown]
	v_mov_b32_e32 v9, v2
	s_cselect_b32 s4, ttmp9, s3
	s_delay_alu instid0(SALU_CYCLE_1)
	s_ashr_i32 s5, s4, 31
	s_wait_kmcnt 0x0
	v_cmp_gt_u32_e32 vcc_lo, s2, v1
	s_and_saveexec_b32 s2, vcc_lo
	s_cbranch_execz .LBB30_2
; %bb.1:
	s_clause 0x1
	s_load_b64 s[6:7], s[0:1], 0x10
	s_load_b64 s[8:9], s[0:1], 0x28
	s_wait_kmcnt 0x0
	s_mul_u64 s[6:7], s[6:7], s[4:5]
	s_delay_alu instid0(SALU_CYCLE_1) | instskip(NEXT) | instid1(SALU_CYCLE_1)
	s_lshl_b64 s[6:7], s[6:7], 1
	s_add_nc_u64 s[6:7], s[8:9], s[6:7]
	global_load_b128 v[10:13], v0, s[6:7] scale_offset
	s_wait_loadcnt 0x0
	v_dual_lshlrev_b32 v8, 16, v10 :: v_dual_lshlrev_b32 v6, 16, v11
	v_and_b32_e32 v9, 0xffff0000, v10
	v_and_b32_e32 v7, 0xffff0000, v11
	v_dual_lshlrev_b32 v4, 16, v12 :: v_dual_lshlrev_b32 v2, 16, v13
	v_and_b32_e32 v5, 0xffff0000, v12
	v_and_b32_e32 v3, 0xffff0000, v13
.LBB30_2:
	s_or_b32 exec_lo, exec_lo, s2
	v_mbcnt_lo_u32_b32 v1, -1, 0
	v_pk_add_f32 v[10:11], v[8:9], v[8:9] op_sel_hi:[0,1] neg_lo:[0,1] neg_hi:[0,1]
	v_add_f32_e32 v10, v8, v9
	v_pk_add_f32 v[8:9], v[6:7], v[6:7] op_sel_hi:[0,1] neg_lo:[0,1] neg_hi:[0,1]
	v_add_f32_e32 v8, v6, v7
	;; [unrolled: 2-line block ×3, first 2 shown]
	v_xor_b32_e32 v4, 1, v1
	v_pk_add_f32 v[12:13], v[2:3], v[2:3] op_sel_hi:[0,1] neg_lo:[0,1] neg_hi:[0,1]
	v_add_f32_e32 v12, v2, v3
	v_pk_add_f32 v[2:3], v[8:9], v[10:11]
	v_pk_add_f32 v[8:9], v[10:11], v[8:9] neg_lo:[0,1] neg_hi:[0,1]
	v_cmp_gt_i32_e64 s2, 32, v4
	s_delay_alu instid0(VALU_DEP_1) | instskip(SKIP_3) | instid1(VALU_DEP_4)
	v_dual_cndmask_b32 v14, v1, v4, s2 :: v_dual_bitop2_b32 v18, 2, v1 bitop3:0x14
	v_pk_add_f32 v[4:5], v[12:13], v[6:7]
	v_and_b32_e32 v16, 1, v0
	v_pk_add_f32 v[6:7], v[6:7], v[12:13] neg_lo:[0,1] neg_hi:[0,1]
	v_cmp_gt_i32_e64 s3, 32, v18
	v_lshlrev_b32_e32 v17, 2, v14
	v_pk_add_f32 v[14:15], v[4:5], v[2:3]
	v_dual_sub_f32 v12, v3, v5 :: v_dual_sub_f32 v19, v2, v4
	v_sub_f32_e32 v20, v8, v6
	v_pk_add_f32 v[4:5], v[6:7], v[8:9]
	ds_bpermute_b32 v2, v17, v14
	ds_bpermute_b32 v3, v17, v15
	v_cmp_eq_u32_e64 s2, 0, v16
	v_sub_f32_e32 v21, v9, v7
	ds_bpermute_b32 v10, v17, v19
	ds_bpermute_b32 v11, v17, v12
	;; [unrolled: 1-line block ×5, first 2 shown]
	v_cndmask_b32_e64 v13, -v12, v12, s2
	ds_bpermute_b32 v9, v17, v21
	v_dual_cndmask_b32 v16, v1, v18, s3 :: v_dual_cndmask_b32 v15, -v15, v15, s2
	v_dual_cndmask_b32 v14, -v14, v14, s2 :: v_dual_bitop2_b32 v18, 2, v0 bitop3:0x40
	s_delay_alu instid0(VALU_DEP_2)
	v_dual_cndmask_b32 v12, -v19, v19, s2 :: v_dual_lshlrev_b32 v22, 2, v16
	v_dual_cndmask_b32 v17, -v21, v21, s2 :: v_dual_cndmask_b32 v4, -v4, v4, s2
	v_dual_cndmask_b32 v5, -v5, v5, s2 :: v_dual_cndmask_b32 v16, -v20, v20, s2
	s_wait_dscnt 0x6
	v_pk_add_f32 v[2:3], v[14:15], v[2:3]
	v_cmp_eq_u32_e64 s2, 0, v18
	v_and_b32_e32 v19, 4, v0
	s_wait_dscnt 0x4
	v_pk_add_f32 v[10:11], v[12:13], v[10:11]
	ds_bpermute_b32 v12, v22, v2
	ds_bpermute_b32 v13, v22, v3
	s_wait_dscnt 0x4
	v_pk_add_f32 v[4:5], v[4:5], v[6:7]
	v_xor_b32_e32 v18, 4, v1
	s_wait_dscnt 0x2
	v_pk_add_f32 v[6:7], v[16:17], v[8:9]
	ds_bpermute_b32 v8, v22, v10
	ds_bpermute_b32 v9, v22, v11
	ds_bpermute_b32 v14, v22, v4
	ds_bpermute_b32 v15, v22, v5
	ds_bpermute_b32 v16, v22, v6
	ds_bpermute_b32 v17, v22, v7
	v_cndmask_b32_e64 v11, -v11, v11, s2
	v_cmp_gt_i32_e64 s3, 32, v18
	v_dual_cndmask_b32 v3, -v3, v3, s2 :: v_dual_cndmask_b32 v2, -v2, v2, s2
	v_dual_cndmask_b32 v10, -v10, v10, s2 :: v_dual_cndmask_b32 v4, -v4, v4, s2
	s_delay_alu instid0(VALU_DEP_3)
	v_cndmask_b32_e64 v18, v1, v18, s3
	v_dual_cndmask_b32 v5, -v5, v5, s2 :: v_dual_cndmask_b32 v7, -v7, v7, s2
	v_cndmask_b32_e64 v6, -v6, v6, s2
	s_wait_dscnt 0x6
	v_pk_add_f32 v[2:3], v[2:3], v[12:13]
	v_lshlrev_b32_e32 v20, 2, v18
	v_cmp_eq_u32_e64 s2, 0, v19
	s_wait_dscnt 0x4
	v_pk_add_f32 v[8:9], v[10:11], v[8:9]
	ds_bpermute_b32 v12, v20, v2
	ds_bpermute_b32 v13, v20, v3
	s_wait_dscnt 0x4
	v_pk_add_f32 v[4:5], v[4:5], v[14:15]
	s_wait_dscnt 0x2
	v_pk_add_f32 v[6:7], v[6:7], v[16:17]
	ds_bpermute_b32 v18, v20, v8
	ds_bpermute_b32 v19, v20, v9
	v_dual_cndmask_b32 v3, -v3, v3, s2 :: v_dual_cndmask_b32 v2, -v2, v2, s2
	ds_bpermute_b32 v10, v20, v4
	ds_bpermute_b32 v11, v20, v5
	;; [unrolled: 1-line block ×4, first 2 shown]
	v_dual_cndmask_b32 v4, -v4, v4, s2 :: v_dual_bitop2_b32 v20, 8, v1 bitop3:0x14
	v_dual_cndmask_b32 v5, -v5, v5, s2 :: v_dual_cndmask_b32 v7, -v7, v7, s2
	v_cndmask_b32_e64 v6, -v6, v6, s2
	s_delay_alu instid0(VALU_DEP_3) | instskip(SKIP_2) | instid1(VALU_DEP_2)
	v_cmp_gt_i32_e64 s3, 32, v20
	s_wait_dscnt 0x6
	v_pk_add_f32 v[16:17], v[2:3], v[12:13]
	v_cndmask_b32_e64 v1, v1, v20, s3
	v_dual_cndmask_b32 v3, -v9, v9, s2 :: v_dual_cndmask_b32 v2, -v8, v8, s2
	s_delay_alu instid0(VALU_DEP_2) | instskip(SKIP_2) | instid1(VALU_DEP_3)
	v_lshlrev_b32_e32 v1, 2, v1
	s_wait_dscnt 0x2
	v_pk_add_f32 v[8:9], v[4:5], v[10:11]
	v_pk_add_f32 v[12:13], v[2:3], v[18:19]
	s_wait_dscnt 0x0
	v_pk_add_f32 v[14:15], v[6:7], v[14:15]
	ds_bpermute_b32 v10, v1, v16
	ds_bpermute_b32 v11, v1, v17
	;; [unrolled: 1-line block ×8, first 2 shown]
	s_and_saveexec_b32 s2, vcc_lo
	s_cbranch_execz .LBB30_4
; %bb.3:
	s_load_b96 s[8:10], s[0:1], 0x18
	v_and_b32_e32 v1, 8, v0
	s_wait_xcnt 0x0
	s_load_b64 s[0:1], s[0:1], 0x30
	s_delay_alu instid0(VALU_DEP_1)
	v_cmp_eq_u32_e32 vcc_lo, 0, v1
	v_cndmask_b32_e64 v9, -v9, v9, vcc_lo
	v_dual_cndmask_b32 v17, -v17, v17, vcc_lo :: v_dual_cndmask_b32 v16, -v16, v16, vcc_lo
	v_dual_cndmask_b32 v15, -v15, v15, vcc_lo :: v_dual_cndmask_b32 v14, -v14, v14, vcc_lo
	;; [unrolled: 1-line block ×3, first 2 shown]
	v_cndmask_b32_e64 v8, -v8, v8, vcc_lo
	s_wait_dscnt 0x6
	v_pk_add_f32 v[10:11], v[16:17], v[10:11]
	s_wait_dscnt 0x0
	v_pk_add_f32 v[6:7], v[14:15], v[6:7]
	s_wait_kmcnt 0x0
	s_mov_b32 s2, s10
	v_pk_add_f32 v[4:5], v[12:13], v[4:5]
	v_pk_add_f32 v[2:3], v[8:9], v[2:3]
	v_pk_mul_f32 v[10:11], s[2:3], v[10:11] op_sel_hi:[0,1]
	v_pk_mul_f32 v[6:7], s[2:3], v[6:7] op_sel_hi:[0,1]
	s_delay_alu instid0(VALU_DEP_4) | instskip(NEXT) | instid1(VALU_DEP_4)
	v_pk_mul_f32 v[8:9], s[2:3], v[4:5] op_sel_hi:[0,1]
	v_pk_mul_f32 v[2:3], s[2:3], v[2:3] op_sel_hi:[0,1]
	s_mul_u64 s[2:3], s[8:9], s[4:5]
	s_delay_alu instid0(VALU_DEP_3)
	v_cvt_pk_bf16_f32 v5, v6, v7
	s_lshl_b64 s[2:3], s[2:3], 1
	v_cvt_pk_bf16_f32 v4, v8, v9
	v_cvt_pk_bf16_f32 v3, v2, v3
	;; [unrolled: 1-line block ×3, first 2 shown]
	s_add_nc_u64 s[0:1], s[0:1], s[2:3]
	global_store_b128 v0, v[2:5], s[0:1] scale_offset
.LBB30_4:
	s_endpgm
	.section	.rodata,"a",@progbits
	.p2align	6, 0x0
	.amdhsa_kernel _Z30fast_hadamard_transform_kernelI37fast_hadamard_transform_kernel_traitsILi16ELi7E14__hip_bfloat16EEv18HadamardParamsBase
		.amdhsa_group_segment_fixed_size 0
		.amdhsa_private_segment_fixed_size 0
		.amdhsa_kernarg_size 56
		.amdhsa_user_sgpr_count 2
		.amdhsa_user_sgpr_dispatch_ptr 0
		.amdhsa_user_sgpr_queue_ptr 0
		.amdhsa_user_sgpr_kernarg_segment_ptr 1
		.amdhsa_user_sgpr_dispatch_id 0
		.amdhsa_user_sgpr_kernarg_preload_length 0
		.amdhsa_user_sgpr_kernarg_preload_offset 0
		.amdhsa_user_sgpr_private_segment_size 0
		.amdhsa_wavefront_size32 1
		.amdhsa_uses_dynamic_stack 0
		.amdhsa_enable_private_segment 0
		.amdhsa_system_sgpr_workgroup_id_x 1
		.amdhsa_system_sgpr_workgroup_id_y 0
		.amdhsa_system_sgpr_workgroup_id_z 0
		.amdhsa_system_sgpr_workgroup_info 0
		.amdhsa_system_vgpr_workitem_id 0
		.amdhsa_next_free_vgpr 23
		.amdhsa_next_free_sgpr 11
		.amdhsa_named_barrier_count 0
		.amdhsa_reserve_vcc 1
		.amdhsa_float_round_mode_32 0
		.amdhsa_float_round_mode_16_64 0
		.amdhsa_float_denorm_mode_32 3
		.amdhsa_float_denorm_mode_16_64 3
		.amdhsa_fp16_overflow 0
		.amdhsa_memory_ordered 1
		.amdhsa_forward_progress 1
		.amdhsa_inst_pref_size 11
		.amdhsa_round_robin_scheduling 0
		.amdhsa_exception_fp_ieee_invalid_op 0
		.amdhsa_exception_fp_denorm_src 0
		.amdhsa_exception_fp_ieee_div_zero 0
		.amdhsa_exception_fp_ieee_overflow 0
		.amdhsa_exception_fp_ieee_underflow 0
		.amdhsa_exception_fp_ieee_inexact 0
		.amdhsa_exception_int_div_zero 0
	.end_amdhsa_kernel
	.section	.text._Z30fast_hadamard_transform_kernelI37fast_hadamard_transform_kernel_traitsILi16ELi7E14__hip_bfloat16EEv18HadamardParamsBase,"axG",@progbits,_Z30fast_hadamard_transform_kernelI37fast_hadamard_transform_kernel_traitsILi16ELi7E14__hip_bfloat16EEv18HadamardParamsBase,comdat
.Lfunc_end30:
	.size	_Z30fast_hadamard_transform_kernelI37fast_hadamard_transform_kernel_traitsILi16ELi7E14__hip_bfloat16EEv18HadamardParamsBase, .Lfunc_end30-_Z30fast_hadamard_transform_kernelI37fast_hadamard_transform_kernel_traitsILi16ELi7E14__hip_bfloat16EEv18HadamardParamsBase
                                        ; -- End function
	.set _Z30fast_hadamard_transform_kernelI37fast_hadamard_transform_kernel_traitsILi16ELi7E14__hip_bfloat16EEv18HadamardParamsBase.num_vgpr, 23
	.set _Z30fast_hadamard_transform_kernelI37fast_hadamard_transform_kernel_traitsILi16ELi7E14__hip_bfloat16EEv18HadamardParamsBase.num_agpr, 0
	.set _Z30fast_hadamard_transform_kernelI37fast_hadamard_transform_kernel_traitsILi16ELi7E14__hip_bfloat16EEv18HadamardParamsBase.numbered_sgpr, 11
	.set _Z30fast_hadamard_transform_kernelI37fast_hadamard_transform_kernel_traitsILi16ELi7E14__hip_bfloat16EEv18HadamardParamsBase.num_named_barrier, 0
	.set _Z30fast_hadamard_transform_kernelI37fast_hadamard_transform_kernel_traitsILi16ELi7E14__hip_bfloat16EEv18HadamardParamsBase.private_seg_size, 0
	.set _Z30fast_hadamard_transform_kernelI37fast_hadamard_transform_kernel_traitsILi16ELi7E14__hip_bfloat16EEv18HadamardParamsBase.uses_vcc, 1
	.set _Z30fast_hadamard_transform_kernelI37fast_hadamard_transform_kernel_traitsILi16ELi7E14__hip_bfloat16EEv18HadamardParamsBase.uses_flat_scratch, 0
	.set _Z30fast_hadamard_transform_kernelI37fast_hadamard_transform_kernel_traitsILi16ELi7E14__hip_bfloat16EEv18HadamardParamsBase.has_dyn_sized_stack, 0
	.set _Z30fast_hadamard_transform_kernelI37fast_hadamard_transform_kernel_traitsILi16ELi7E14__hip_bfloat16EEv18HadamardParamsBase.has_recursion, 0
	.set _Z30fast_hadamard_transform_kernelI37fast_hadamard_transform_kernel_traitsILi16ELi7E14__hip_bfloat16EEv18HadamardParamsBase.has_indirect_call, 0
	.section	.AMDGPU.csdata,"",@progbits
; Kernel info:
; codeLenInByte = 1284
; TotalNumSgprs: 13
; NumVgprs: 23
; ScratchSize: 0
; MemoryBound: 0
; FloatMode: 240
; IeeeMode: 1
; LDSByteSize: 0 bytes/workgroup (compile time only)
; SGPRBlocks: 0
; VGPRBlocks: 1
; NumSGPRsForWavesPerEU: 13
; NumVGPRsForWavesPerEU: 23
; NamedBarCnt: 0
; Occupancy: 16
; WaveLimiterHint : 0
; COMPUTE_PGM_RSRC2:SCRATCH_EN: 0
; COMPUTE_PGM_RSRC2:USER_SGPR: 2
; COMPUTE_PGM_RSRC2:TRAP_HANDLER: 0
; COMPUTE_PGM_RSRC2:TGID_X_EN: 1
; COMPUTE_PGM_RSRC2:TGID_Y_EN: 0
; COMPUTE_PGM_RSRC2:TGID_Z_EN: 0
; COMPUTE_PGM_RSRC2:TIDIG_COMP_CNT: 0
	.section	.text._Z30fast_hadamard_transform_kernelI37fast_hadamard_transform_kernel_traitsILi32ELi8E14__hip_bfloat16EEv18HadamardParamsBase,"axG",@progbits,_Z30fast_hadamard_transform_kernelI37fast_hadamard_transform_kernel_traitsILi32ELi8E14__hip_bfloat16EEv18HadamardParamsBase,comdat
	.protected	_Z30fast_hadamard_transform_kernelI37fast_hadamard_transform_kernel_traitsILi32ELi8E14__hip_bfloat16EEv18HadamardParamsBase ; -- Begin function _Z30fast_hadamard_transform_kernelI37fast_hadamard_transform_kernel_traitsILi32ELi8E14__hip_bfloat16EEv18HadamardParamsBase
	.globl	_Z30fast_hadamard_transform_kernelI37fast_hadamard_transform_kernel_traitsILi32ELi8E14__hip_bfloat16EEv18HadamardParamsBase
	.p2align	8
	.type	_Z30fast_hadamard_transform_kernelI37fast_hadamard_transform_kernel_traitsILi32ELi8E14__hip_bfloat16EEv18HadamardParamsBase,@function
_Z30fast_hadamard_transform_kernelI37fast_hadamard_transform_kernel_traitsILi32ELi8E14__hip_bfloat16EEv18HadamardParamsBase: ; @_Z30fast_hadamard_transform_kernelI37fast_hadamard_transform_kernel_traitsILi32ELi8E14__hip_bfloat16EEv18HadamardParamsBase
; %bb.0:
	s_load_b32 s2, s[0:1], 0x4
	s_bfe_u32 s4, ttmp6, 0x4000c
	v_dual_mov_b32 v3, 0 :: v_dual_mov_b32 v7, 0
	s_add_co_i32 s4, s4, 1
	v_lshlrev_b32_e32 v1, 3, v0
	s_and_b32 s3, ttmp6, 15
	s_mul_i32 s4, ttmp9, s4
	s_getreg_b32 s5, hwreg(HW_REG_IB_STS2, 6, 4)
	s_add_co_i32 s3, s3, s4
	s_cmp_eq_u32 s5, 0
	v_dual_mov_b32 v5, 0 :: v_dual_mov_b32 v9, 0
	v_dual_mov_b32 v2, v3 :: v_dual_mov_b32 v6, v3
	;; [unrolled: 1-line block ×3, first 2 shown]
	s_cselect_b32 s4, ttmp9, s3
	s_delay_alu instid0(SALU_CYCLE_1)
	s_ashr_i32 s5, s4, 31
	s_wait_kmcnt 0x0
	v_cmp_gt_u32_e32 vcc_lo, s2, v1
	s_and_saveexec_b32 s2, vcc_lo
	s_cbranch_execz .LBB31_2
; %bb.1:
	s_clause 0x1
	s_load_b64 s[6:7], s[0:1], 0x10
	s_load_b64 s[8:9], s[0:1], 0x28
	s_wait_kmcnt 0x0
	s_mul_u64 s[6:7], s[6:7], s[4:5]
	s_delay_alu instid0(SALU_CYCLE_1) | instskip(NEXT) | instid1(SALU_CYCLE_1)
	s_lshl_b64 s[6:7], s[6:7], 1
	s_add_nc_u64 s[6:7], s[8:9], s[6:7]
	global_load_b128 v[8:11], v0, s[6:7] scale_offset
	s_wait_loadcnt 0x0
	v_dual_lshlrev_b32 v4, 16, v8 :: v_dual_lshlrev_b32 v2, 16, v9
	v_and_b32_e32 v8, 0xffff0000, v8
	v_and_b32_e32 v6, 0xffff0000, v9
	v_dual_lshlrev_b32 v5, 16, v10 :: v_dual_lshlrev_b32 v3, 16, v11
	v_and_b32_e32 v9, 0xffff0000, v10
	v_and_b32_e32 v7, 0xffff0000, v11
.LBB31_2:
	s_or_b32 exec_lo, exec_lo, s2
	v_mbcnt_lo_u32_b32 v1, -1, 0
	s_delay_alu instid0(VALU_DEP_3) | instskip(NEXT) | instid1(VALU_DEP_3)
	v_pk_add_f32 v[10:11], v[8:9], v[4:5]
	v_pk_add_f32 v[12:13], v[6:7], v[2:3]
	v_pk_add_f32 v[2:3], v[2:3], v[6:7] neg_lo:[0,1] neg_hi:[0,1]
	v_pk_add_f32 v[4:5], v[4:5], v[8:9] neg_lo:[0,1] neg_hi:[0,1]
	s_delay_alu instid0(VALU_DEP_3) | instskip(SKIP_2) | instid1(VALU_DEP_4)
	v_pk_add_f32 v[6:7], v[12:13], v[10:11]
	v_xor_b32_e32 v14, 1, v1
	v_pk_add_f32 v[10:11], v[10:11], v[12:13] neg_lo:[0,1] neg_hi:[0,1]
	v_pk_add_f32 v[8:9], v[2:3], v[4:5]
	v_pk_add_f32 v[2:3], v[4:5], v[2:3] neg_lo:[0,1] neg_hi:[0,1]
	v_add_f32_e32 v12, v7, v6
	v_cmp_gt_i32_e64 s2, 32, v14
	v_and_b32_e32 v15, 1, v0
	v_dual_sub_f32 v17, v6, v7 :: v_dual_bitop2_b32 v16, 2, v1 bitop3:0x14
	v_dual_sub_f32 v18, v8, v9 :: v_dual_add_f32 v19, v11, v10
	s_delay_alu instid0(VALU_DEP_4) | instskip(SKIP_1) | instid1(VALU_DEP_4)
	v_cndmask_b32_e64 v14, v1, v14, s2
	v_dual_add_f32 v20, v3, v2 :: v_dual_sub_f32 v21, v10, v11
	v_cmp_gt_i32_e64 s3, 32, v16
	s_delay_alu instid0(VALU_DEP_3) | instskip(SKIP_2) | instid1(VALU_DEP_4)
	v_dual_sub_f32 v22, v2, v3 :: v_dual_lshlrev_b32 v13, 2, v14
	v_add_f32_e32 v14, v9, v8
	v_cmp_eq_u32_e64 s2, 0, v15
	v_dual_cndmask_b32 v15, v1, v16, s3 :: v_dual_bitop2_b32 v23, 4, v1 bitop3:0x14
	ds_bpermute_b32 v4, v13, v12
	ds_bpermute_b32 v5, v13, v14
	;; [unrolled: 1-line block ×8, first 2 shown]
	v_dual_cndmask_b32 v10, -v12, v12, s2 :: v_dual_cndmask_b32 v11, -v14, v14, s2
	v_dual_cndmask_b32 v12, -v19, v19, s2 :: v_dual_bitop2_b32 v14, 2, v0 bitop3:0x40
	v_dual_lshlrev_b32 v19, 2, v15 :: v_dual_cndmask_b32 v13, -v20, v20, s2
	v_cndmask_b32_e64 v16, -v21, v21, s2
	s_delay_alu instid0(VALU_DEP_3)
	v_cmp_eq_u32_e64 s3, 0, v14
	s_wait_dscnt 0x6
	v_pk_add_f32 v[4:5], v[10:11], v[4:5]
	v_dual_cndmask_b32 v10, -v17, v17, s2 :: v_dual_cndmask_b32 v11, -v18, v18, s2
	v_cndmask_b32_e64 v17, -v22, v22, s2
	v_cmp_gt_i32_e64 s2, 32, v23
	ds_bpermute_b32 v14, v19, v4
	ds_bpermute_b32 v15, v19, v5
	s_wait_dscnt 0x6
	v_pk_add_f32 v[2:3], v[12:13], v[2:3]
	s_wait_dscnt 0x4
	v_pk_add_f32 v[6:7], v[10:11], v[6:7]
	v_cndmask_b32_e64 v18, v1, v23, s2
	s_wait_dscnt 0x2
	v_pk_add_f32 v[8:9], v[16:17], v[8:9]
	v_dual_cndmask_b32 v5, -v5, v5, s3 :: v_dual_cndmask_b32 v4, -v4, v4, s3
	ds_bpermute_b32 v10, v19, v2
	ds_bpermute_b32 v11, v19, v3
	;; [unrolled: 1-line block ×6, first 2 shown]
	v_dual_lshlrev_b32 v18, 2, v18 :: v_dual_bitop2_b32 v19, 4, v0 bitop3:0x40
	v_dual_cndmask_b32 v3, -v3, v3, s3 :: v_dual_cndmask_b32 v2, -v2, v2, s3
	v_dual_cndmask_b32 v7, -v7, v7, s3 :: v_dual_cndmask_b32 v6, -v6, v6, s3
	;; [unrolled: 1-line block ×3, first 2 shown]
	s_wait_dscnt 0x6
	v_pk_add_f32 v[4:5], v[4:5], v[14:15]
	v_cmp_eq_u32_e64 s2, 0, v19
	v_xor_b32_e32 v19, 8, v1
	ds_bpermute_b32 v14, v18, v4
	ds_bpermute_b32 v15, v18, v5
	s_wait_dscnt 0x6
	v_pk_add_f32 v[2:3], v[2:3], v[10:11]
	v_cndmask_b32_e64 v4, -v4, v4, s2
	s_wait_dscnt 0x4
	v_pk_add_f32 v[6:7], v[6:7], v[12:13]
	v_cmp_gt_i32_e64 s3, 32, v19
	s_wait_dscnt 0x2
	v_pk_add_f32 v[8:9], v[8:9], v[16:17]
	ds_bpermute_b32 v10, v18, v2
	ds_bpermute_b32 v11, v18, v3
	;; [unrolled: 1-line block ×6, first 2 shown]
	v_dual_cndmask_b32 v18, v1, v19, s3 :: v_dual_bitop2_b32 v19, 8, v0 bitop3:0x40
	v_dual_cndmask_b32 v5, -v5, v5, s2 :: v_dual_cndmask_b32 v3, -v3, v3, s2
	v_cndmask_b32_e64 v2, -v2, v2, s2
	s_delay_alu instid0(VALU_DEP_3)
	v_dual_lshlrev_b32 v20, 2, v18 :: v_dual_cndmask_b32 v7, -v7, v7, s2
	v_cndmask_b32_e64 v6, -v6, v6, s2
	s_wait_dscnt 0x6
	v_pk_add_f32 v[4:5], v[4:5], v[14:15]
	v_dual_cndmask_b32 v9, -v9, v9, s2 :: v_dual_cndmask_b32 v8, -v8, v8, s2
	v_cmp_eq_u32_e64 s2, 0, v19
	ds_bpermute_b32 v14, v20, v4
	ds_bpermute_b32 v15, v20, v5
	s_wait_dscnt 0x6
	v_pk_add_f32 v[2:3], v[2:3], v[10:11]
	v_dual_cndmask_b32 v5, -v5, v5, s2 :: v_dual_cndmask_b32 v4, -v4, v4, s2
	s_wait_dscnt 0x4
	v_pk_add_f32 v[6:7], v[6:7], v[12:13]
	s_wait_dscnt 0x2
	v_pk_add_f32 v[8:9], v[8:9], v[16:17]
	ds_bpermute_b32 v10, v20, v2
	ds_bpermute_b32 v11, v20, v3
	v_cndmask_b32_e64 v3, -v3, v3, s2
	ds_bpermute_b32 v12, v20, v6
	ds_bpermute_b32 v18, v20, v8
	;; [unrolled: 1-line block ×4, first 2 shown]
	v_xor_b32_e32 v20, 16, v1
	s_delay_alu instid0(VALU_DEP_1)
	v_cmp_gt_i32_e64 s3, 32, v20
	v_cndmask_b32_e64 v2, -v2, v2, s2
	s_wait_dscnt 0x6
	v_pk_add_f32 v[16:17], v[4:5], v[14:15]
	v_dual_cndmask_b32 v5, -v7, v7, s2 :: v_dual_cndmask_b32 v15, -v9, v9, s2
	v_cndmask_b32_e64 v1, v1, v20, s3
	v_dual_cndmask_b32 v14, -v8, v8, s2 :: v_dual_cndmask_b32 v4, -v6, v6, s2
	s_wait_dscnt 0x4
	v_pk_add_f32 v[8:9], v[2:3], v[10:11]
	s_delay_alu instid0(VALU_DEP_3)
	v_lshlrev_b32_e32 v1, 2, v1
	s_wait_dscnt 0x1
	v_pk_add_f32 v[14:15], v[14:15], v[18:19]
	s_wait_dscnt 0x0
	v_pk_add_f32 v[12:13], v[4:5], v[12:13]
	ds_bpermute_b32 v10, v1, v16
	ds_bpermute_b32 v11, v1, v17
	;; [unrolled: 1-line block ×8, first 2 shown]
	s_and_saveexec_b32 s2, vcc_lo
	s_cbranch_execz .LBB31_4
; %bb.3:
	s_load_b96 s[8:10], s[0:1], 0x18
	v_and_b32_e32 v1, 16, v0
	s_wait_xcnt 0x0
	s_load_b64 s[0:1], s[0:1], 0x30
	s_delay_alu instid0(VALU_DEP_1)
	v_cmp_eq_u32_e32 vcc_lo, 0, v1
	v_cndmask_b32_e64 v9, -v9, v9, vcc_lo
	v_dual_cndmask_b32 v17, -v17, v17, vcc_lo :: v_dual_cndmask_b32 v16, -v16, v16, vcc_lo
	v_dual_cndmask_b32 v15, -v15, v15, vcc_lo :: v_dual_cndmask_b32 v14, -v14, v14, vcc_lo
	;; [unrolled: 1-line block ×3, first 2 shown]
	v_cndmask_b32_e64 v8, -v8, v8, vcc_lo
	s_wait_dscnt 0x6
	v_pk_add_f32 v[10:11], v[16:17], v[10:11]
	s_wait_dscnt 0x0
	v_pk_add_f32 v[6:7], v[14:15], v[6:7]
	s_wait_kmcnt 0x0
	s_mov_b32 s2, s10
	v_pk_add_f32 v[4:5], v[12:13], v[4:5]
	v_pk_add_f32 v[2:3], v[8:9], v[2:3]
	v_pk_mul_f32 v[10:11], s[2:3], v[10:11] op_sel_hi:[0,1]
	v_pk_mul_f32 v[6:7], s[2:3], v[6:7] op_sel_hi:[0,1]
	s_delay_alu instid0(VALU_DEP_4) | instskip(NEXT) | instid1(VALU_DEP_4)
	v_pk_mul_f32 v[8:9], s[2:3], v[4:5] op_sel_hi:[0,1]
	v_pk_mul_f32 v[2:3], s[2:3], v[2:3] op_sel_hi:[0,1]
	s_mul_u64 s[2:3], s[8:9], s[4:5]
	s_delay_alu instid0(VALU_DEP_3)
	v_cvt_pk_bf16_f32 v5, v6, v7
	s_lshl_b64 s[2:3], s[2:3], 1
	v_cvt_pk_bf16_f32 v4, v8, v9
	v_cvt_pk_bf16_f32 v3, v2, v3
	;; [unrolled: 1-line block ×3, first 2 shown]
	s_add_nc_u64 s[0:1], s[0:1], s[2:3]
	global_store_b128 v0, v[2:5], s[0:1] scale_offset
.LBB31_4:
	s_endpgm
	.section	.rodata,"a",@progbits
	.p2align	6, 0x0
	.amdhsa_kernel _Z30fast_hadamard_transform_kernelI37fast_hadamard_transform_kernel_traitsILi32ELi8E14__hip_bfloat16EEv18HadamardParamsBase
		.amdhsa_group_segment_fixed_size 0
		.amdhsa_private_segment_fixed_size 0
		.amdhsa_kernarg_size 56
		.amdhsa_user_sgpr_count 2
		.amdhsa_user_sgpr_dispatch_ptr 0
		.amdhsa_user_sgpr_queue_ptr 0
		.amdhsa_user_sgpr_kernarg_segment_ptr 1
		.amdhsa_user_sgpr_dispatch_id 0
		.amdhsa_user_sgpr_kernarg_preload_length 0
		.amdhsa_user_sgpr_kernarg_preload_offset 0
		.amdhsa_user_sgpr_private_segment_size 0
		.amdhsa_wavefront_size32 1
		.amdhsa_uses_dynamic_stack 0
		.amdhsa_enable_private_segment 0
		.amdhsa_system_sgpr_workgroup_id_x 1
		.amdhsa_system_sgpr_workgroup_id_y 0
		.amdhsa_system_sgpr_workgroup_id_z 0
		.amdhsa_system_sgpr_workgroup_info 0
		.amdhsa_system_vgpr_workitem_id 0
		.amdhsa_next_free_vgpr 24
		.amdhsa_next_free_sgpr 11
		.amdhsa_named_barrier_count 0
		.amdhsa_reserve_vcc 1
		.amdhsa_float_round_mode_32 0
		.amdhsa_float_round_mode_16_64 0
		.amdhsa_float_denorm_mode_32 3
		.amdhsa_float_denorm_mode_16_64 3
		.amdhsa_fp16_overflow 0
		.amdhsa_memory_ordered 1
		.amdhsa_forward_progress 1
		.amdhsa_inst_pref_size 12
		.amdhsa_round_robin_scheduling 0
		.amdhsa_exception_fp_ieee_invalid_op 0
		.amdhsa_exception_fp_denorm_src 0
		.amdhsa_exception_fp_ieee_div_zero 0
		.amdhsa_exception_fp_ieee_overflow 0
		.amdhsa_exception_fp_ieee_underflow 0
		.amdhsa_exception_fp_ieee_inexact 0
		.amdhsa_exception_int_div_zero 0
	.end_amdhsa_kernel
	.section	.text._Z30fast_hadamard_transform_kernelI37fast_hadamard_transform_kernel_traitsILi32ELi8E14__hip_bfloat16EEv18HadamardParamsBase,"axG",@progbits,_Z30fast_hadamard_transform_kernelI37fast_hadamard_transform_kernel_traitsILi32ELi8E14__hip_bfloat16EEv18HadamardParamsBase,comdat
.Lfunc_end31:
	.size	_Z30fast_hadamard_transform_kernelI37fast_hadamard_transform_kernel_traitsILi32ELi8E14__hip_bfloat16EEv18HadamardParamsBase, .Lfunc_end31-_Z30fast_hadamard_transform_kernelI37fast_hadamard_transform_kernel_traitsILi32ELi8E14__hip_bfloat16EEv18HadamardParamsBase
                                        ; -- End function
	.set _Z30fast_hadamard_transform_kernelI37fast_hadamard_transform_kernel_traitsILi32ELi8E14__hip_bfloat16EEv18HadamardParamsBase.num_vgpr, 24
	.set _Z30fast_hadamard_transform_kernelI37fast_hadamard_transform_kernel_traitsILi32ELi8E14__hip_bfloat16EEv18HadamardParamsBase.num_agpr, 0
	.set _Z30fast_hadamard_transform_kernelI37fast_hadamard_transform_kernel_traitsILi32ELi8E14__hip_bfloat16EEv18HadamardParamsBase.numbered_sgpr, 11
	.set _Z30fast_hadamard_transform_kernelI37fast_hadamard_transform_kernel_traitsILi32ELi8E14__hip_bfloat16EEv18HadamardParamsBase.num_named_barrier, 0
	.set _Z30fast_hadamard_transform_kernelI37fast_hadamard_transform_kernel_traitsILi32ELi8E14__hip_bfloat16EEv18HadamardParamsBase.private_seg_size, 0
	.set _Z30fast_hadamard_transform_kernelI37fast_hadamard_transform_kernel_traitsILi32ELi8E14__hip_bfloat16EEv18HadamardParamsBase.uses_vcc, 1
	.set _Z30fast_hadamard_transform_kernelI37fast_hadamard_transform_kernel_traitsILi32ELi8E14__hip_bfloat16EEv18HadamardParamsBase.uses_flat_scratch, 0
	.set _Z30fast_hadamard_transform_kernelI37fast_hadamard_transform_kernel_traitsILi32ELi8E14__hip_bfloat16EEv18HadamardParamsBase.has_dyn_sized_stack, 0
	.set _Z30fast_hadamard_transform_kernelI37fast_hadamard_transform_kernel_traitsILi32ELi8E14__hip_bfloat16EEv18HadamardParamsBase.has_recursion, 0
	.set _Z30fast_hadamard_transform_kernelI37fast_hadamard_transform_kernel_traitsILi32ELi8E14__hip_bfloat16EEv18HadamardParamsBase.has_indirect_call, 0
	.section	.AMDGPU.csdata,"",@progbits
; Kernel info:
; codeLenInByte = 1512
; TotalNumSgprs: 13
; NumVgprs: 24
; ScratchSize: 0
; MemoryBound: 0
; FloatMode: 240
; IeeeMode: 1
; LDSByteSize: 0 bytes/workgroup (compile time only)
; SGPRBlocks: 0
; VGPRBlocks: 1
; NumSGPRsForWavesPerEU: 13
; NumVGPRsForWavesPerEU: 24
; NamedBarCnt: 0
; Occupancy: 16
; WaveLimiterHint : 0
; COMPUTE_PGM_RSRC2:SCRATCH_EN: 0
; COMPUTE_PGM_RSRC2:USER_SGPR: 2
; COMPUTE_PGM_RSRC2:TRAP_HANDLER: 0
; COMPUTE_PGM_RSRC2:TGID_X_EN: 1
; COMPUTE_PGM_RSRC2:TGID_Y_EN: 0
; COMPUTE_PGM_RSRC2:TGID_Z_EN: 0
; COMPUTE_PGM_RSRC2:TIDIG_COMP_CNT: 0
	.section	.text._Z30fast_hadamard_transform_kernelI37fast_hadamard_transform_kernel_traitsILi32ELi9E14__hip_bfloat16EEv18HadamardParamsBase,"axG",@progbits,_Z30fast_hadamard_transform_kernelI37fast_hadamard_transform_kernel_traitsILi32ELi9E14__hip_bfloat16EEv18HadamardParamsBase,comdat
	.protected	_Z30fast_hadamard_transform_kernelI37fast_hadamard_transform_kernel_traitsILi32ELi9E14__hip_bfloat16EEv18HadamardParamsBase ; -- Begin function _Z30fast_hadamard_transform_kernelI37fast_hadamard_transform_kernel_traitsILi32ELi9E14__hip_bfloat16EEv18HadamardParamsBase
	.globl	_Z30fast_hadamard_transform_kernelI37fast_hadamard_transform_kernel_traitsILi32ELi9E14__hip_bfloat16EEv18HadamardParamsBase
	.p2align	8
	.type	_Z30fast_hadamard_transform_kernelI37fast_hadamard_transform_kernel_traitsILi32ELi9E14__hip_bfloat16EEv18HadamardParamsBase,@function
_Z30fast_hadamard_transform_kernelI37fast_hadamard_transform_kernel_traitsILi32ELi9E14__hip_bfloat16EEv18HadamardParamsBase: ; @_Z30fast_hadamard_transform_kernelI37fast_hadamard_transform_kernel_traitsILi32ELi9E14__hip_bfloat16EEv18HadamardParamsBase
; %bb.0:
	s_clause 0x3
	s_load_b128 s[8:11], s[0:1], 0x10
	s_load_b32 s14, s[0:1], 0x4
	s_load_b128 s[4:7], s[0:1], 0x28
	s_load_b32 s15, s[0:1], 0x44
	s_bfe_u32 s3, ttmp6, 0x4000c
	s_and_b32 s2, ttmp6, 15
	s_add_co_i32 s3, s3, 1
	s_getreg_b32 s12, hwreg(HW_REG_IB_STS2, 6, 4)
	s_mul_i32 s3, ttmp9, s3
	v_dual_mov_b32 v11, 0 :: v_dual_lshlrev_b32 v1, 3, v0
	s_add_co_i32 s2, s2, s3
	s_cmp_eq_u32 s12, 0
	v_dual_mov_b32 v2, 0 :: v_dual_mov_b32 v10, 0
	s_cselect_b32 s12, ttmp9, s2
	v_dual_mov_b32 v12, 0 :: v_dual_mov_b32 v13, 0
	s_ashr_i32 s13, s12, 31
	v_dual_mov_b32 v14, 0 :: v_dual_mov_b32 v15, 0
	s_wait_kmcnt 0x0
	s_mul_u64 s[2:3], s[8:9], s[12:13]
	v_cmp_gt_u32_e32 vcc_lo, s14, v1
	v_dual_mov_b32 v16, 0 :: v_dual_mov_b32 v17, 0
	s_lshl_b64 s[2:3], s[2:3], 1
	s_delay_alu instid0(SALU_CYCLE_1)
	s_add_nc_u64 s[2:3], s[4:5], s[2:3]
	s_and_saveexec_b32 s4, vcc_lo
	s_cbranch_execz .LBB32_2
; %bb.1:
	global_load_b128 v[4:7], v0, s[2:3] scale_offset
	s_wait_loadcnt 0x0
	v_dual_lshlrev_b32 v16, 16, v4 :: v_dual_lshlrev_b32 v14, 16, v5
	v_and_b32_e32 v17, 0xffff0000, v4
	v_and_b32_e32 v15, 0xffff0000, v5
	v_dual_lshlrev_b32 v12, 16, v6 :: v_dual_lshlrev_b32 v10, 16, v7
	v_and_b32_e32 v13, 0xffff0000, v6
	v_and_b32_e32 v11, 0xffff0000, v7
.LBB32_2:
	s_or_b32 exec_lo, exec_lo, s4
	s_load_b32 s8, s[0:1], 0x20
	s_and_b32 s4, 0xffff, s15
	s_delay_alu instid0(SALU_CYCLE_1) | instskip(SKIP_2) | instid1(VALU_DEP_3)
	v_dual_mov_b32 v3, 0 :: v_dual_add_nc_u32 v1, s4, v0
	v_dual_mov_b32 v5, 0 :: v_dual_mov_b32 v7, 0
	v_dual_mov_b32 v8, 0 :: v_dual_mov_b32 v4, 0
	v_dual_mov_b32 v9, 0 :: v_dual_lshlrev_b32 v6, 3, v1
	s_wait_xcnt 0x0
	s_delay_alu instid0(VALU_DEP_1)
	v_cmp_gt_u32_e64 s0, s14, v6
	v_mov_b32_e32 v6, 0
	s_and_saveexec_b32 s1, s0
	s_cbranch_execz .LBB32_4
; %bb.3:
	global_load_b128 v[18:21], v1, s[2:3] scale_offset
	s_wait_loadcnt 0x0
	v_dual_lshlrev_b32 v8, 16, v18 :: v_dual_lshlrev_b32 v6, 16, v19
	v_and_b32_e32 v9, 0xffff0000, v18
	v_and_b32_e32 v7, 0xffff0000, v19
	v_dual_lshlrev_b32 v4, 16, v20 :: v_dual_lshlrev_b32 v2, 16, v21
	v_and_b32_e32 v5, 0xffff0000, v20
	v_and_b32_e32 v3, 0xffff0000, v21
.LBB32_4:
	s_or_b32 exec_lo, exec_lo, s1
	v_mbcnt_lo_u32_b32 v34, -1, 0
	v_pk_add_f32 v[18:19], v[16:17], v[16:17] op_sel_hi:[0,1] neg_lo:[0,1] neg_hi:[0,1]
	v_add_f32_e32 v18, v16, v17
	v_pk_add_f32 v[16:17], v[14:15], v[14:15] op_sel_hi:[0,1] neg_lo:[0,1] neg_hi:[0,1]
	v_add_f32_e32 v16, v14, v15
	v_pk_add_f32 v[14:15], v[12:13], v[12:13] op_sel_hi:[0,1] neg_lo:[0,1] neg_hi:[0,1]
	v_dual_add_f32 v14, v12, v13 :: v_dual_bitop2_b32 v12, 1, v34 bitop3:0x14
	v_pk_add_f32 v[20:21], v[10:11], v[10:11] op_sel_hi:[0,1] neg_lo:[0,1] neg_hi:[0,1]
	v_dual_add_f32 v20, v10, v11 :: v_dual_bitop2_b32 v22, 2, v34 bitop3:0x14
	v_pk_add_f32 v[10:11], v[16:17], v[18:19]
	s_delay_alu instid0(VALU_DEP_4)
	v_cmp_gt_i32_e64 s1, 32, v12
	s_mul_u64 s[10:11], s[10:11], s[12:13]
	s_wait_kmcnt 0x0
	s_mov_b32 s9, s8
	s_lshl_b64 s[10:11], s[10:11], 1
	v_and_b32_e32 v25, 1, v0
	v_cndmask_b32_e64 v23, v34, v12, s1
	v_pk_add_f32 v[12:13], v[20:21], v[14:15]
	v_cmp_gt_i32_e64 s1, 32, v22
	v_pk_add_f32 v[14:15], v[14:15], v[20:21] neg_lo:[0,1] neg_hi:[0,1]
	v_pk_add_f32 v[20:21], v[8:9], v[8:9] op_sel_hi:[0,1] neg_lo:[0,1] neg_hi:[0,1]
	v_add_f32_e32 v20, v8, v9
	v_pk_add_f32 v[8:9], v[6:7], v[6:7] op_sel_hi:[0,1] neg_lo:[0,1] neg_hi:[0,1]
	v_dual_cndmask_b32 v24, v34, v22, s1 :: v_dual_lshlrev_b32 v28, 2, v23
	v_pk_add_f32 v[22:23], v[12:13], v[10:11]
	v_pk_add_f32 v[10:11], v[10:11], v[12:13] neg_lo:[0,1] neg_hi:[0,1]
	v_pk_add_f32 v[12:13], v[18:19], v[16:17] neg_lo:[0,1] neg_hi:[0,1]
	v_add_f32_e32 v8, v6, v7
	v_pk_add_f32 v[6:7], v[2:3], v[2:3] op_sel_hi:[0,1] neg_lo:[0,1] neg_hi:[0,1]
	v_cmp_eq_u32_e64 s2, 0, v25
	ds_bpermute_b32 v16, v28, v10
	ds_bpermute_b32 v17, v28, v11
	v_pk_add_f32 v[18:19], v[14:15], v[12:13]
	v_pk_add_f32 v[12:13], v[12:13], v[14:15] neg_lo:[0,1] neg_hi:[0,1]
	v_pk_add_f32 v[14:15], v[4:5], v[4:5] op_sel_hi:[0,1] neg_lo:[0,1] neg_hi:[0,1]
	v_dual_add_f32 v14, v4, v5 :: v_dual_add_f32 v6, v2, v3
	v_dual_cndmask_b32 v25, -v22, v22, s2 :: v_dual_bitop2_b32 v26, 2, v0 bitop3:0x40
	v_dual_lshlrev_b32 v35, 2, v24 :: v_dual_cndmask_b32 v29, -v23, v23, s2
	ds_bpermute_b32 v24, v28, v22
	ds_bpermute_b32 v27, v28, v23
	v_dual_cndmask_b32 v11, -v11, v11, s2 :: v_dual_cndmask_b32 v10, -v10, v10, s2
	v_pk_add_f32 v[4:5], v[8:9], v[20:21]
	v_pk_add_f32 v[22:23], v[6:7], v[14:15]
	ds_bpermute_b32 v30, v28, v18
	ds_bpermute_b32 v31, v28, v19
	v_pk_add_f32 v[8:9], v[20:21], v[8:9] neg_lo:[0,1] neg_hi:[0,1]
	v_pk_add_f32 v[6:7], v[14:15], v[6:7] neg_lo:[0,1] neg_hi:[0,1]
	s_wait_dscnt 0x4
	v_pk_add_f32 v[10:11], v[10:11], v[16:17]
	v_pk_add_f32 v[16:17], v[22:23], v[4:5]
	ds_bpermute_b32 v2, v28, v12
	v_dual_cndmask_b32 v18, -v18, v18, s2 :: v_dual_cndmask_b32 v12, -v12, v12, s2
	v_pk_add_f32 v[4:5], v[4:5], v[22:23] neg_lo:[0,1] neg_hi:[0,1]
	ds_bpermute_b32 v33, v28, v16
	ds_bpermute_b32 v22, v28, v17
	v_dual_cndmask_b32 v16, -v16, v16, s2 :: v_dual_cndmask_b32 v23, -v17, v17, s2
	s_wait_dscnt 0x6
	v_add_f32_e32 v32, v25, v24
	s_wait_dscnt 0x5
	v_add_f32_e32 v29, v29, v27
	v_pk_add_f32 v[20:21], v[6:7], v[8:9]
	v_cndmask_b32_e64 v19, -v19, v19, s2
	ds_bpermute_b32 v3, v28, v13
	ds_bpermute_b32 v24, v35, v32
	;; [unrolled: 1-line block ×5, first 2 shown]
	v_cmp_eq_u32_e64 s1, 0, v26
	s_wait_dscnt 0x9
	v_dual_cndmask_b32 v13, -v13, v13, s2 :: v_dual_add_f32 v30, v18, v30
	s_wait_dscnt 0x8
	v_add_f32_e32 v31, v19, v31
	ds_bpermute_b32 v18, v28, v4
	ds_bpermute_b32 v19, v28, v5
	v_dual_cndmask_b32 v5, -v5, v5, s2 :: v_dual_cndmask_b32 v4, -v4, v4, s2
	s_wait_dscnt 0x8
	v_dual_add_f32 v33, v16, v33 :: v_dual_bitop2_b32 v16, 4, v34 bitop3:0x14
	s_wait_dscnt 0x7
	v_dual_cndmask_b32 v17, -v29, v29, s1 :: v_dual_add_f32 v29, v23, v22
	v_pk_add_f32 v[6:7], v[8:9], v[6:7] neg_lo:[0,1] neg_hi:[0,1]
	ds_bpermute_b32 v26, v35, v10
	v_cmp_gt_i32_e64 s3, 32, v16
	s_wait_dscnt 0x7
	v_pk_add_f32 v[2:3], v[12:13], v[2:3]
	ds_bpermute_b32 v12, v35, v30
	ds_bpermute_b32 v8, v28, v6
	ds_bpermute_b32 v9, v28, v7
	v_cndmask_b32_e64 v38, v34, v16, s3
	v_dual_cndmask_b32 v16, -v32, v32, s1 :: v_dual_cndmask_b32 v7, -v7, v7, s2
	v_cndmask_b32_e64 v6, -v6, v6, s2
	ds_bpermute_b32 v13, v35, v31
	v_lshlrev_b32_e32 v38, 2, v38
	s_wait_dscnt 0x9
	v_pk_add_f32 v[16:17], v[16:17], v[24:25]
	v_dual_cndmask_b32 v24, -v20, v20, s2 :: v_dual_cndmask_b32 v25, -v21, v21, s2
	s_wait_dscnt 0x5
	v_pk_add_f32 v[4:5], v[4:5], v[18:19]
	ds_bpermute_b32 v18, v35, v33
	ds_bpermute_b32 v19, v35, v29
	v_dual_add_f32 v32, v24, v36 :: v_dual_add_f32 v36, v25, v37
	v_and_b32_e32 v25, 4, v0
	ds_bpermute_b32 v21, v38, v17
	ds_bpermute_b32 v20, v38, v16
	ds_bpermute_b32 v24, v35, v32
	v_cndmask_b32_e64 v29, -v29, v29, s1
	v_cmp_eq_u32_e64 s3, 0, v25
	v_xor_b32_e32 v37, 8, v34
	ds_bpermute_b32 v25, v35, v36
	v_cndmask_b32_e64 v32, -v32, v32, s1
	s_wait_dscnt 0x7
	v_pk_add_f32 v[6:7], v[6:7], v[8:9]
	v_cndmask_b32_e64 v17, -v17, v17, s3
	v_cmp_gt_i32_e64 s4, 32, v37
	v_cndmask_b32_e64 v16, -v16, v16, s3
	ds_bpermute_b32 v27, v35, v11
	ds_bpermute_b32 v14, v35, v2
	;; [unrolled: 1-line block ×3, first 2 shown]
	v_cndmask_b32_e64 v28, v34, v37, s4
	ds_bpermute_b32 v22, v35, v4
	ds_bpermute_b32 v23, v35, v5
	v_dual_cndmask_b32 v11, -v11, v11, s1 :: v_dual_bitop2_b32 v37, 8, v0 bitop3:0x40
	v_dual_cndmask_b32 v2, -v2, v2, s1 :: v_dual_lshlrev_b32 v39, 2, v28
	v_dual_cndmask_b32 v28, -v33, v33, s1 :: v_dual_cndmask_b32 v33, -v36, v36, s1
	s_wait_dscnt 0x7
	v_pk_add_f32 v[16:17], v[16:17], v[20:21]
	v_dual_cndmask_b32 v21, -v31, v31, s1 :: v_dual_cndmask_b32 v20, -v30, v30, s1
	s_delay_alu instid0(VALU_DEP_3)
	v_pk_add_f32 v[8:9], v[28:29], v[18:19]
	s_wait_dscnt 0x5
	v_pk_add_f32 v[18:19], v[32:33], v[24:25]
	ds_bpermute_b32 v30, v39, v16
	ds_bpermute_b32 v31, v39, v17
	;; [unrolled: 1-line block ×6, first 2 shown]
	v_dual_cndmask_b32 v19, -v19, v19, s3 :: v_dual_cndmask_b32 v18, -v18, v18, s3
	v_pk_add_f32 v[12:13], v[20:21], v[12:13]
	v_cmp_eq_u32_e64 s4, 0, v37
	v_xor_b32_e32 v37, 16, v34
	v_dual_cndmask_b32 v10, -v10, v10, s1 :: v_dual_cndmask_b32 v3, -v3, v3, s1
	v_cndmask_b32_e64 v5, -v5, v5, s1
	ds_bpermute_b32 v21, v38, v13
	v_dual_cndmask_b32 v17, -v17, v17, s4 :: v_dual_cndmask_b32 v16, -v16, v16, s4
	v_cndmask_b32_e64 v13, -v13, v13, s3
	v_cmp_gt_i32_e64 s5, 32, v37
	v_dual_cndmask_b32 v7, -v7, v7, s1 :: v_dual_cndmask_b32 v6, -v6, v6, s1
	ds_bpermute_b32 v20, v38, v12
	v_and_b32_e32 v36, 16, v0
	s_wait_dscnt 0x6
	v_pk_add_f32 v[16:17], v[16:17], v[30:31]
	v_cndmask_b32_e64 v30, v34, v37, s5
	s_wait_dscnt 0x2
	v_pk_add_f32 v[18:19], v[18:19], v[28:29]
	v_cndmask_b32_e64 v4, -v4, v4, s1
	v_pk_add_f32 v[10:11], v[10:11], v[26:27]
	v_pk_add_f32 v[2:3], v[2:3], v[14:15]
	;; [unrolled: 1-line block ×3, first 2 shown]
	ds_bpermute_b32 v29, v39, v19
	v_cndmask_b32_e64 v19, -v19, v19, s4
	ds_bpermute_b32 v28, v39, v18
	v_cndmask_b32_e64 v18, -v18, v18, s4
	v_pk_add_f32 v[4:5], v[4:5], v[22:23]
	ds_bpermute_b32 v24, v38, v8
	ds_bpermute_b32 v25, v38, v9
	v_dual_cndmask_b32 v8, -v8, v8, s3 :: v_dual_lshlrev_b32 v37, 2, v30
	ds_bpermute_b32 v14, v38, v10
	ds_bpermute_b32 v15, v38, v11
	;; [unrolled: 1-line block ×8, first 2 shown]
	v_dual_cndmask_b32 v12, -v12, v12, s3 :: v_dual_cndmask_b32 v9, -v9, v9, s3
	v_dual_cndmask_b32 v11, -v11, v11, s3 :: v_dual_cndmask_b32 v10, -v10, v10, s3
	;; [unrolled: 1-line block ×3, first 2 shown]
	s_wait_dscnt 0xc
	s_delay_alu instid0(VALU_DEP_3)
	v_pk_add_f32 v[12:13], v[12:13], v[20:21]
	v_dual_cndmask_b32 v5, -v5, v5, s3 :: v_dual_cndmask_b32 v7, -v7, v7, s3
	v_dual_cndmask_b32 v6, -v6, v6, s3 :: v_dual_cndmask_b32 v4, -v4, v4, s3
	s_wait_dscnt 0x8
	v_pk_add_f32 v[8:9], v[8:9], v[24:25]
	ds_bpermute_b32 v20, v39, v12
	ds_bpermute_b32 v21, v39, v13
	s_wait_dscnt 0x8
	v_pk_add_f32 v[10:11], v[10:11], v[14:15]
	s_wait_dscnt 0x6
	v_pk_add_f32 v[2:3], v[2:3], v[22:23]
	ds_bpermute_b32 v24, v39, v8
	ds_bpermute_b32 v25, v39, v9
	s_wait_dscnt 0x5
	v_pk_add_f32 v[6:7], v[6:7], v[30:31]
	s_wait_dscnt 0x4
	v_pk_add_f32 v[4:5], v[4:5], v[26:27]
	v_pk_add_f32 v[18:19], v[18:19], v[28:29]
	ds_bpermute_b32 v14, v39, v10
	ds_bpermute_b32 v15, v39, v11
	;; [unrolled: 1-line block ×8, first 2 shown]
	v_dual_cndmask_b32 v13, -v13, v13, s4 :: v_dual_cndmask_b32 v12, -v12, v12, s4
	v_dual_cndmask_b32 v9, -v9, v9, s4 :: v_dual_cndmask_b32 v8, -v8, v8, s4
	;; [unrolled: 1-line block ×3, first 2 shown]
	s_wait_dscnt 0xa
	s_delay_alu instid0(VALU_DEP_3)
	v_pk_add_f32 v[12:13], v[12:13], v[20:21]
	v_dual_cndmask_b32 v3, -v3, v3, s4 :: v_dual_cndmask_b32 v2, -v2, v2, s4
	v_dual_cndmask_b32 v5, -v5, v5, s4 :: v_dual_cndmask_b32 v7, -v7, v7, s4
	;; [unrolled: 1-line block ×3, first 2 shown]
	s_wait_dscnt 0x8
	v_pk_add_f32 v[8:9], v[8:9], v[24:25]
	ds_bpermute_b32 v20, v37, v16
	ds_bpermute_b32 v21, v37, v17
	;; [unrolled: 1-line block ×4, first 2 shown]
	s_wait_dscnt 0xa
	v_pk_add_f32 v[10:11], v[10:11], v[14:15]
	s_wait_dscnt 0x8
	v_pk_add_f32 v[14:15], v[2:3], v[22:23]
	;; [unrolled: 2-line block ×4, first 2 shown]
	v_cmp_eq_u32_e64 s2, 0, v36
	ds_bpermute_b32 v30, v37, v8
	ds_bpermute_b32 v32, v37, v18
	;; [unrolled: 1-line block ×12, first 2 shown]
	v_dual_cndmask_b32 v17, -v17, v17, s2 :: v_dual_cndmask_b32 v16, -v16, v16, s2
	v_dual_cndmask_b32 v13, -v13, v13, s2 :: v_dual_cndmask_b32 v12, -v12, v12, s2
	;; [unrolled: 1-line block ×3, first 2 shown]
	s_wait_dscnt 0xe
	s_delay_alu instid0(VALU_DEP_3)
	v_pk_add_f32 v[4:5], v[16:17], v[20:21]
	v_dual_cndmask_b32 v9, -v9, v9, s2 :: v_dual_cndmask_b32 v8, -v8, v8, s2
	s_wait_dscnt 0xc
	v_pk_add_f32 v[2:3], v[12:13], v[24:25]
	v_dual_cndmask_b32 v13, -v11, v11, s2 :: v_dual_cndmask_b32 v12, -v10, v10, s2
	v_dual_cndmask_b32 v11, -v15, v15, s2 :: v_dual_cndmask_b32 v10, -v14, v14, s2
	;; [unrolled: 1-line block ×4, first 2 shown]
	s_wait_dscnt 0x9
	v_pk_add_f32 v[6:7], v[6:7], v[32:33]
	s_wait_dscnt 0x8
	v_pk_add_f32 v[8:9], v[8:9], v[30:31]
	;; [unrolled: 2-line block ×3, first 2 shown]
	v_pk_add_f32 v[12:13], v[12:13], v[28:29]
	s_wait_dscnt 0x1
	v_pk_add_f32 v[14:15], v[14:15], v[38:39]
	s_wait_dscnt 0x0
	v_pk_add_f32 v[16:17], v[16:17], v[36:37]
	s_add_nc_u64 s[2:3], s[6:7], s[10:11]
	s_and_saveexec_b32 s1, vcc_lo
	s_cbranch_execnz .LBB32_7
; %bb.5:
	s_or_b32 exec_lo, exec_lo, s1
	s_and_saveexec_b32 s1, s0
	s_cbranch_execnz .LBB32_8
.LBB32_6:
	s_endpgm
.LBB32_7:
	s_mov_b32 s4, s8
	s_mov_b32 s5, s8
	v_mov_b64_e32 v[24:25], s[8:9]
	v_mov_b64_e32 v[20:21], s[4:5]
	v_pk_add_f32 v[18:19], v[2:3], v[6:7]
	v_pk_add_f32 v[22:23], v[10:11], v[14:15]
	;; [unrolled: 1-line block ×4, first 2 shown]
	s_delay_alu instid0(VALU_DEP_3) | instskip(SKIP_1) | instid1(VALU_DEP_4)
	v_pk_mul_f32 v[22:23], v[20:21], v[22:23]
	v_pk_mul_f32 v[18:19], v[20:21], v[18:19]
	;; [unrolled: 1-line block ×3, first 2 shown]
	s_delay_alu instid0(VALU_DEP_4) | instskip(NEXT) | instid1(VALU_DEP_4)
	v_pk_mul_f32 v[24:25], v[24:25], v[28:29]
	v_cvt_pk_bf16_f32 v21, v22, v23
	s_delay_alu instid0(VALU_DEP_4) | instskip(NEXT) | instid1(VALU_DEP_4)
	v_cvt_pk_bf16_f32 v19, v18, v19
	v_cvt_pk_bf16_f32 v20, v26, v27
	s_delay_alu instid0(VALU_DEP_4)
	v_cvt_pk_bf16_f32 v18, v24, v25
	global_store_b128 v0, v[18:21], s[2:3] scale_offset
	s_wait_xcnt 0x0
	s_or_b32 exec_lo, exec_lo, s1
	s_and_saveexec_b32 s1, s0
	s_cbranch_execz .LBB32_6
.LBB32_8:
	s_mov_b32 s0, s8
	s_mov_b32 s1, s8
	v_mov_b64_e32 v[20:21], s[8:9]
	v_mov_b64_e32 v[18:19], s[0:1]
	v_dual_sub_f32 v5, v5, v9 :: v_dual_sub_f32 v3, v3, v7
	v_dual_sub_f32 v13, v13, v17 :: v_dual_sub_f32 v11, v11, v15
	;; [unrolled: 1-line block ×4, first 2 shown]
	s_delay_alu instid0(VALU_DEP_2) | instskip(NEXT) | instid1(VALU_DEP_3)
	v_pk_mul_f32 v[6:7], v[18:19], v[10:11]
	v_pk_mul_f32 v[8:9], v[20:21], v[12:13]
	s_delay_alu instid0(VALU_DEP_3) | instskip(NEXT) | instid1(VALU_DEP_4)
	v_pk_mul_f32 v[2:3], v[18:19], v[2:3]
	v_pk_mul_f32 v[10:11], v[20:21], v[4:5]
	s_delay_alu instid0(VALU_DEP_4) | instskip(NEXT) | instid1(VALU_DEP_4)
	v_cvt_pk_bf16_f32 v5, v6, v7
	v_cvt_pk_bf16_f32 v4, v8, v9
	s_delay_alu instid0(VALU_DEP_4) | instskip(NEXT) | instid1(VALU_DEP_4)
	v_cvt_pk_bf16_f32 v3, v2, v3
	v_cvt_pk_bf16_f32 v2, v10, v11
	global_store_b128 v1, v[2:5], s[2:3] scale_offset
	s_endpgm
	.section	.rodata,"a",@progbits
	.p2align	6, 0x0
	.amdhsa_kernel _Z30fast_hadamard_transform_kernelI37fast_hadamard_transform_kernel_traitsILi32ELi9E14__hip_bfloat16EEv18HadamardParamsBase
		.amdhsa_group_segment_fixed_size 0
		.amdhsa_private_segment_fixed_size 0
		.amdhsa_kernarg_size 312
		.amdhsa_user_sgpr_count 2
		.amdhsa_user_sgpr_dispatch_ptr 0
		.amdhsa_user_sgpr_queue_ptr 0
		.amdhsa_user_sgpr_kernarg_segment_ptr 1
		.amdhsa_user_sgpr_dispatch_id 0
		.amdhsa_user_sgpr_kernarg_preload_length 0
		.amdhsa_user_sgpr_kernarg_preload_offset 0
		.amdhsa_user_sgpr_private_segment_size 0
		.amdhsa_wavefront_size32 1
		.amdhsa_uses_dynamic_stack 0
		.amdhsa_enable_private_segment 0
		.amdhsa_system_sgpr_workgroup_id_x 1
		.amdhsa_system_sgpr_workgroup_id_y 0
		.amdhsa_system_sgpr_workgroup_id_z 0
		.amdhsa_system_sgpr_workgroup_info 0
		.amdhsa_system_vgpr_workitem_id 0
		.amdhsa_next_free_vgpr 40
		.amdhsa_next_free_sgpr 16
		.amdhsa_named_barrier_count 0
		.amdhsa_reserve_vcc 1
		.amdhsa_float_round_mode_32 0
		.amdhsa_float_round_mode_16_64 0
		.amdhsa_float_denorm_mode_32 3
		.amdhsa_float_denorm_mode_16_64 3
		.amdhsa_fp16_overflow 0
		.amdhsa_memory_ordered 1
		.amdhsa_forward_progress 1
		.amdhsa_inst_pref_size 23
		.amdhsa_round_robin_scheduling 0
		.amdhsa_exception_fp_ieee_invalid_op 0
		.amdhsa_exception_fp_denorm_src 0
		.amdhsa_exception_fp_ieee_div_zero 0
		.amdhsa_exception_fp_ieee_overflow 0
		.amdhsa_exception_fp_ieee_underflow 0
		.amdhsa_exception_fp_ieee_inexact 0
		.amdhsa_exception_int_div_zero 0
	.end_amdhsa_kernel
	.section	.text._Z30fast_hadamard_transform_kernelI37fast_hadamard_transform_kernel_traitsILi32ELi9E14__hip_bfloat16EEv18HadamardParamsBase,"axG",@progbits,_Z30fast_hadamard_transform_kernelI37fast_hadamard_transform_kernel_traitsILi32ELi9E14__hip_bfloat16EEv18HadamardParamsBase,comdat
.Lfunc_end32:
	.size	_Z30fast_hadamard_transform_kernelI37fast_hadamard_transform_kernel_traitsILi32ELi9E14__hip_bfloat16EEv18HadamardParamsBase, .Lfunc_end32-_Z30fast_hadamard_transform_kernelI37fast_hadamard_transform_kernel_traitsILi32ELi9E14__hip_bfloat16EEv18HadamardParamsBase
                                        ; -- End function
	.set _Z30fast_hadamard_transform_kernelI37fast_hadamard_transform_kernel_traitsILi32ELi9E14__hip_bfloat16EEv18HadamardParamsBase.num_vgpr, 40
	.set _Z30fast_hadamard_transform_kernelI37fast_hadamard_transform_kernel_traitsILi32ELi9E14__hip_bfloat16EEv18HadamardParamsBase.num_agpr, 0
	.set _Z30fast_hadamard_transform_kernelI37fast_hadamard_transform_kernel_traitsILi32ELi9E14__hip_bfloat16EEv18HadamardParamsBase.numbered_sgpr, 16
	.set _Z30fast_hadamard_transform_kernelI37fast_hadamard_transform_kernel_traitsILi32ELi9E14__hip_bfloat16EEv18HadamardParamsBase.num_named_barrier, 0
	.set _Z30fast_hadamard_transform_kernelI37fast_hadamard_transform_kernel_traitsILi32ELi9E14__hip_bfloat16EEv18HadamardParamsBase.private_seg_size, 0
	.set _Z30fast_hadamard_transform_kernelI37fast_hadamard_transform_kernel_traitsILi32ELi9E14__hip_bfloat16EEv18HadamardParamsBase.uses_vcc, 1
	.set _Z30fast_hadamard_transform_kernelI37fast_hadamard_transform_kernel_traitsILi32ELi9E14__hip_bfloat16EEv18HadamardParamsBase.uses_flat_scratch, 0
	.set _Z30fast_hadamard_transform_kernelI37fast_hadamard_transform_kernel_traitsILi32ELi9E14__hip_bfloat16EEv18HadamardParamsBase.has_dyn_sized_stack, 0
	.set _Z30fast_hadamard_transform_kernelI37fast_hadamard_transform_kernel_traitsILi32ELi9E14__hip_bfloat16EEv18HadamardParamsBase.has_recursion, 0
	.set _Z30fast_hadamard_transform_kernelI37fast_hadamard_transform_kernel_traitsILi32ELi9E14__hip_bfloat16EEv18HadamardParamsBase.has_indirect_call, 0
	.section	.AMDGPU.csdata,"",@progbits
; Kernel info:
; codeLenInByte = 2824
; TotalNumSgprs: 18
; NumVgprs: 40
; ScratchSize: 0
; MemoryBound: 0
; FloatMode: 240
; IeeeMode: 1
; LDSByteSize: 0 bytes/workgroup (compile time only)
; SGPRBlocks: 0
; VGPRBlocks: 2
; NumSGPRsForWavesPerEU: 18
; NumVGPRsForWavesPerEU: 40
; NamedBarCnt: 0
; Occupancy: 16
; WaveLimiterHint : 0
; COMPUTE_PGM_RSRC2:SCRATCH_EN: 0
; COMPUTE_PGM_RSRC2:USER_SGPR: 2
; COMPUTE_PGM_RSRC2:TRAP_HANDLER: 0
; COMPUTE_PGM_RSRC2:TGID_X_EN: 1
; COMPUTE_PGM_RSRC2:TGID_Y_EN: 0
; COMPUTE_PGM_RSRC2:TGID_Z_EN: 0
; COMPUTE_PGM_RSRC2:TIDIG_COMP_CNT: 0
	.section	.text._Z30fast_hadamard_transform_kernelI37fast_hadamard_transform_kernel_traitsILi128ELi10E14__hip_bfloat16EEv18HadamardParamsBase,"axG",@progbits,_Z30fast_hadamard_transform_kernelI37fast_hadamard_transform_kernel_traitsILi128ELi10E14__hip_bfloat16EEv18HadamardParamsBase,comdat
	.protected	_Z30fast_hadamard_transform_kernelI37fast_hadamard_transform_kernel_traitsILi128ELi10E14__hip_bfloat16EEv18HadamardParamsBase ; -- Begin function _Z30fast_hadamard_transform_kernelI37fast_hadamard_transform_kernel_traitsILi128ELi10E14__hip_bfloat16EEv18HadamardParamsBase
	.globl	_Z30fast_hadamard_transform_kernelI37fast_hadamard_transform_kernel_traitsILi128ELi10E14__hip_bfloat16EEv18HadamardParamsBase
	.p2align	8
	.type	_Z30fast_hadamard_transform_kernelI37fast_hadamard_transform_kernel_traitsILi128ELi10E14__hip_bfloat16EEv18HadamardParamsBase,@function
_Z30fast_hadamard_transform_kernelI37fast_hadamard_transform_kernel_traitsILi128ELi10E14__hip_bfloat16EEv18HadamardParamsBase: ; @_Z30fast_hadamard_transform_kernelI37fast_hadamard_transform_kernel_traitsILi128ELi10E14__hip_bfloat16EEv18HadamardParamsBase
; %bb.0:
	s_load_b32 s2, s[0:1], 0x4
	s_bfe_u32 s4, ttmp6, 0x4000c
	v_dual_mov_b32 v2, 0 :: v_dual_lshlrev_b32 v1, 3, v0
	s_add_co_i32 s4, s4, 1
	s_and_b32 s3, ttmp6, 15
	s_mul_i32 s4, ttmp9, s4
	s_getreg_b32 s5, hwreg(HW_REG_IB_STS2, 6, 4)
	s_add_co_i32 s3, s3, s4
	s_cmp_eq_u32 s5, 0
	v_dual_mov_b32 v3, v2 :: v_dual_mov_b32 v4, v2
	v_dual_mov_b32 v5, v2 :: v_dual_mov_b32 v6, v2
	;; [unrolled: 1-line block ×3, first 2 shown]
	v_mov_b32_e32 v9, v2
	s_cselect_b32 s6, ttmp9, s3
	s_delay_alu instid0(SALU_CYCLE_1)
	s_ashr_i32 s7, s6, 31
	s_wait_kmcnt 0x0
	v_cmp_gt_u32_e32 vcc_lo, s2, v1
	s_and_saveexec_b32 s2, vcc_lo
	s_cbranch_execz .LBB33_2
; %bb.1:
	s_clause 0x1
	s_load_b64 s[4:5], s[0:1], 0x10
	s_load_b64 s[8:9], s[0:1], 0x28
	s_wait_kmcnt 0x0
	s_mul_u64 s[4:5], s[4:5], s[6:7]
	s_delay_alu instid0(SALU_CYCLE_1) | instskip(NEXT) | instid1(SALU_CYCLE_1)
	s_lshl_b64 s[4:5], s[4:5], 1
	s_add_nc_u64 s[4:5], s[8:9], s[4:5]
	global_load_b128 v[10:13], v0, s[4:5] scale_offset
	s_wait_loadcnt 0x0
	v_dual_lshlrev_b32 v8, 16, v10 :: v_dual_lshlrev_b32 v6, 16, v11
	v_and_b32_e32 v9, 0xffff0000, v10
	v_and_b32_e32 v7, 0xffff0000, v11
	v_dual_lshlrev_b32 v4, 16, v12 :: v_dual_lshlrev_b32 v2, 16, v13
	v_and_b32_e32 v5, 0xffff0000, v12
	v_and_b32_e32 v3, 0xffff0000, v13
.LBB33_2:
	s_or_b32 exec_lo, exec_lo, s2
	v_mbcnt_lo_u32_b32 v1, -1, 0
	v_pk_add_f32 v[10:11], v[8:9], v[8:9] op_sel_hi:[0,1] neg_lo:[0,1] neg_hi:[0,1]
	v_add_f32_e32 v10, v8, v9
	v_pk_add_f32 v[8:9], v[6:7], v[6:7] op_sel_hi:[0,1] neg_lo:[0,1] neg_hi:[0,1]
	v_add_f32_e32 v8, v6, v7
	;; [unrolled: 2-line block ×3, first 2 shown]
	v_xor_b32_e32 v4, 1, v1
	v_pk_add_f32 v[12:13], v[2:3], v[2:3] op_sel_hi:[0,1] neg_lo:[0,1] neg_hi:[0,1]
	v_add_f32_e32 v12, v2, v3
	v_pk_add_f32 v[2:3], v[8:9], v[10:11]
	v_pk_add_f32 v[8:9], v[10:11], v[8:9] neg_lo:[0,1] neg_hi:[0,1]
	v_cmp_gt_i32_e64 s2, 32, v4
	s_barrier_signal -1
	s_barrier_wait -1
	s_delay_alu instid0(VALU_DEP_1) | instskip(SKIP_4) | instid1(VALU_DEP_3)
	v_cndmask_b32_e64 v14, v1, v4, s2
	v_pk_add_f32 v[4:5], v[12:13], v[6:7]
	v_pk_add_f32 v[6:7], v[6:7], v[12:13] neg_lo:[0,1] neg_hi:[0,1]
	v_and_b32_e32 v16, 1, v0
	v_xor_b32_e32 v20, 8, v1
	v_dual_sub_f32 v15, v3, v5 :: v_dual_sub_f32 v18, v8, v6
	s_delay_alu instid0(VALU_DEP_3)
	v_cmp_eq_u32_e64 s2, 0, v16
	v_dual_lshlrev_b32 v22, 2, v14 :: v_dual_bitop2_b32 v19, 2, v1 bitop3:0x14
	v_dual_sub_f32 v14, v2, v4 :: v_dual_sub_f32 v17, v9, v7
	v_pk_add_f32 v[2:3], v[4:5], v[2:3]
	v_pk_add_f32 v[4:5], v[6:7], v[8:9]
	v_cndmask_b32_e64 v7, -v15, v15, s2
	v_cmp_gt_i32_e64 s3, 32, v19
	ds_bpermute_b32 v10, v22, v14
	ds_bpermute_b32 v11, v22, v15
	ds_bpermute_b32 v12, v22, v18
	ds_bpermute_b32 v13, v22, v17
	v_dual_cndmask_b32 v16, v1, v19, s3 :: v_dual_cndmask_b32 v6, -v14, v14, s2
	ds_bpermute_b32 v8, v22, v2
	ds_bpermute_b32 v9, v22, v3
	;; [unrolled: 1-line block ×4, first 2 shown]
	v_dual_lshlrev_b32 v23, 2, v16 :: v_dual_cndmask_b32 v17, -v17, v17, s2
	v_dual_cndmask_b32 v16, -v18, v18, s2 :: v_dual_bitop2_b32 v18, 2, v0 bitop3:0x40
	v_dual_cndmask_b32 v3, -v3, v3, s2 :: v_dual_cndmask_b32 v2, -v2, v2, s2
	v_dual_cndmask_b32 v5, -v5, v5, s2 :: v_dual_cndmask_b32 v4, -v4, v4, s2
	s_delay_alu instid0(VALU_DEP_3)
	v_cmp_eq_u32_e64 s3, 0, v18
	v_and_b32_e32 v19, 4, v0
	s_wait_dscnt 0x6
	v_pk_add_f32 v[6:7], v[6:7], v[10:11]
	v_xor_b32_e32 v18, 4, v1
	s_wait_dscnt 0x4
	v_pk_add_f32 v[10:11], v[16:17], v[12:13]
	ds_bpermute_b32 v12, v23, v6
	s_wait_dscnt 0x3
	v_pk_add_f32 v[2:3], v[2:3], v[8:9]
	ds_bpermute_b32 v13, v23, v7
	;; [unrolled: 3-line block ×3, first 2 shown]
	ds_bpermute_b32 v17, v23, v11
	ds_bpermute_b32 v8, v23, v2
	;; [unrolled: 1-line block ×5, first 2 shown]
	v_cndmask_b32_e64 v7, -v7, v7, s3
	v_cmp_gt_i32_e64 s4, 32, v18
	v_dual_cndmask_b32 v6, -v6, v6, s3 :: v_dual_cndmask_b32 v11, -v11, v11, s3
	v_dual_cndmask_b32 v10, -v10, v10, s3 :: v_dual_cndmask_b32 v3, -v3, v3, s3
	s_delay_alu instid0(VALU_DEP_3) | instskip(SKIP_3) | instid1(VALU_DEP_4)
	v_cndmask_b32_e64 v18, v1, v18, s4
	v_dual_cndmask_b32 v2, -v2, v2, s3 :: v_dual_cndmask_b32 v5, -v5, v5, s3
	v_cndmask_b32_e64 v4, -v4, v4, s3
	v_cmp_gt_i32_e64 s4, 32, v20
	v_lshlrev_b32_e32 v18, 2, v18
	s_wait_dscnt 0x6
	v_pk_add_f32 v[6:7], v[6:7], v[12:13]
	s_wait_dscnt 0x4
	v_pk_add_f32 v[10:11], v[10:11], v[16:17]
	v_cndmask_b32_e64 v20, v1, v20, s4
	s_wait_dscnt 0x2
	v_pk_add_f32 v[2:3], v[2:3], v[8:9]
	ds_bpermute_b32 v12, v18, v6
	s_wait_dscnt 0x1
	v_pk_add_f32 v[4:5], v[4:5], v[14:15]
	ds_bpermute_b32 v13, v18, v7
	ds_bpermute_b32 v8, v18, v10
	;; [unrolled: 1-line block ×7, first 2 shown]
	v_cmp_eq_u32_e64 s4, 0, v19
	v_xor_b32_e32 v18, 16, v1
	s_delay_alu instid0(VALU_DEP_2)
	v_dual_cndmask_b32 v6, -v6, v6, s4 :: v_dual_bitop2_b32 v19, 8, v0 bitop3:0x40
	v_cndmask_b32_e64 v7, -v7, v7, s4
	v_dual_cndmask_b32 v11, -v11, v11, s4 :: v_dual_cndmask_b32 v10, -v10, v10, s4
	v_dual_cndmask_b32 v3, -v3, v3, s4 :: v_dual_cndmask_b32 v2, -v2, v2, s4
	;; [unrolled: 1-line block ×3, first 2 shown]
	v_cmp_gt_i32_e64 s5, 32, v18
	v_lshlrev_b32_e32 v20, 2, v20
	s_wait_dscnt 0x6
	v_pk_add_f32 v[6:7], v[6:7], v[12:13]
	s_wait_dscnt 0x4
	v_pk_add_f32 v[8:9], v[10:11], v[8:9]
	;; [unrolled: 2-line block ×3, first 2 shown]
	v_cndmask_b32_e64 v1, v1, v18, s5
	s_wait_dscnt 0x0
	v_pk_add_f32 v[4:5], v[4:5], v[16:17]
	ds_bpermute_b32 v10, v20, v6
	ds_bpermute_b32 v11, v20, v7
	;; [unrolled: 1-line block ×8, first 2 shown]
	v_cmp_eq_u32_e64 s4, 0, v19
	v_dual_lshlrev_b32 v1, 2, v1 :: v_dual_bitop2_b32 v18, 16, v0 bitop3:0x40
	v_dual_lshrrev_b32 v19, 5, v0 :: v_dual_bitop2_b32 v20, 3, v0 bitop3:0x40
	s_delay_alu instid0(VALU_DEP_3)
	v_dual_cndmask_b32 v7, -v7, v7, s4 :: v_dual_cndmask_b32 v6, -v6, v6, s4
	v_dual_cndmask_b32 v9, -v9, v9, s4 :: v_dual_cndmask_b32 v8, -v8, v8, s4
	;; [unrolled: 1-line block ×4, first 2 shown]
	s_wait_dscnt 0x6
	v_pk_add_f32 v[6:7], v[6:7], v[10:11]
	v_lshrrev_b32_e32 v21, 2, v0
	s_wait_dscnt 0x4
	v_pk_add_f32 v[8:9], v[8:9], v[12:13]
	v_cmp_eq_u32_e64 s4, 0, v18
	s_wait_dscnt 0x2
	v_pk_add_f32 v[2:3], v[2:3], v[14:15]
	ds_bpermute_b32 v10, v1, v6
	s_wait_dscnt 0x1
	v_pk_add_f32 v[4:5], v[4:5], v[16:17]
	ds_bpermute_b32 v12, v1, v8
	ds_bpermute_b32 v13, v1, v9
	;; [unrolled: 1-line block ×7, first 2 shown]
	v_xor_b32_e32 v1, v19, v0
	v_dual_lshlrev_b32 v19, 5, v20 :: v_dual_cndmask_b32 v9, -v9, v9, s4
	v_dual_cndmask_b32 v8, -v8, v8, s4 :: v_dual_cndmask_b32 v3, -v3, v3, s4
	v_cndmask_b32_e64 v2, -v2, v2, s4
	s_delay_alu instid0(VALU_DEP_3)
	v_bitop3_b32 v24, v19, v20, v21 bitop3:0x36
	v_dual_cndmask_b32 v19, -v7, v7, s4 :: v_dual_cndmask_b32 v21, -v5, v5, s4
	v_dual_cndmask_b32 v20, -v4, v4, s4 :: v_dual_cndmask_b32 v18, -v6, v6, s4
	v_lshl_add_u32 v1, v1, 4, 0
	s_wait_dscnt 0x5
	v_pk_add_f32 v[4:5], v[8:9], v[12:13]
	s_wait_dscnt 0x3
	v_pk_add_f32 v[6:7], v[2:3], v[14:15]
	s_wait_dscnt 0x1
	v_pk_add_f32 v[8:9], v[20:21], v[16:17]
	s_wait_dscnt 0x0
	v_pk_add_f32 v[2:3], v[18:19], v[10:11]
	v_lshl_add_u32 v18, v24, 4, 0
	ds_store_b128 v1, v[6:9]
	ds_store_b128 v1, v[2:5] offset:2048
	s_wait_dscnt 0x0
	s_barrier_signal -1
	s_barrier_wait -1
	ds_load_b128 v[2:5], v18
	ds_load_b128 v[6:9], v18 offset:2048
	s_wait_dscnt 0x0
	s_barrier_signal -1
	s_barrier_wait -1
	ds_bpermute_b32 v10, v22, v2
	ds_bpermute_b32 v11, v22, v3
	;; [unrolled: 1-line block ×8, first 2 shown]
	v_dual_cndmask_b32 v3, -v3, v3, s2 :: v_dual_cndmask_b32 v2, -v2, v2, s2
	v_dual_cndmask_b32 v5, -v5, v5, s2 :: v_dual_cndmask_b32 v4, -v4, v4, s2
	;; [unrolled: 1-line block ×3, first 2 shown]
	v_cndmask_b32_e64 v9, -v9, v9, s2
	s_wait_dscnt 0x6
	v_pk_add_f32 v[2:3], v[2:3], v[10:11]
	v_cndmask_b32_e64 v8, -v8, v8, s2
	s_wait_dscnt 0x4
	v_pk_add_f32 v[4:5], v[4:5], v[12:13]
	s_wait_dscnt 0x2
	v_pk_add_f32 v[6:7], v[6:7], v[14:15]
	ds_bpermute_b32 v11, v23, v3
	v_cndmask_b32_e64 v3, -v3, v3, s3
	s_wait_dscnt 0x1
	v_pk_add_f32 v[8:9], v[8:9], v[16:17]
	ds_bpermute_b32 v10, v23, v2
	ds_bpermute_b32 v12, v23, v4
	;; [unrolled: 1-line block ×7, first 2 shown]
	v_dual_cndmask_b32 v2, -v2, v2, s3 :: v_dual_cndmask_b32 v5, -v5, v5, s3
	v_dual_cndmask_b32 v4, -v4, v4, s3 :: v_dual_cndmask_b32 v7, -v7, v7, s3
	;; [unrolled: 1-line block ×3, first 2 shown]
	v_cndmask_b32_e64 v6, -v6, v6, s3
	s_wait_dscnt 0x6
	v_pk_add_f32 v[2:3], v[2:3], v[10:11]
	s_wait_dscnt 0x4
	v_pk_add_f32 v[4:5], v[4:5], v[12:13]
	;; [unrolled: 2-line block ×4, first 2 shown]
	ds_store_b128 v18, v[2:5]
	ds_store_b128 v18, v[6:9] offset:2048
	s_wait_dscnt 0x0
	s_barrier_signal -1
	s_barrier_wait -1
	s_and_saveexec_b32 s2, vcc_lo
	s_cbranch_execz .LBB33_4
; %bb.3:
	s_load_b96 s[8:10], s[0:1], 0x18
	ds_load_b128 v[2:5], v1 offset:2048
	ds_load_b128 v[6:9], v1
	s_wait_xcnt 0x0
	s_load_b64 s[0:1], s[0:1], 0x30
	s_wait_kmcnt 0x0
	s_mov_b32 s2, s10
	s_wait_dscnt 0x1
	v_pk_mul_f32 v[4:5], s[2:3], v[4:5] op_sel_hi:[0,1]
	s_wait_dscnt 0x0
	v_pk_mul_f32 v[8:9], s[2:3], v[8:9] op_sel_hi:[0,1]
	v_pk_mul_f32 v[10:11], s[2:3], v[2:3] op_sel_hi:[0,1]
	;; [unrolled: 1-line block ×3, first 2 shown]
	s_mul_u64 s[2:3], s[8:9], s[6:7]
	v_cvt_pk_bf16_f32 v5, v4, v5
	v_cvt_pk_bf16_f32 v3, v8, v9
	;; [unrolled: 1-line block ×4, first 2 shown]
	s_lshl_b64 s[2:3], s[2:3], 1
	s_delay_alu instid0(SALU_CYCLE_1)
	s_add_nc_u64 s[0:1], s[0:1], s[2:3]
	global_store_b128 v0, v[2:5], s[0:1] scale_offset
.LBB33_4:
	s_endpgm
	.section	.rodata,"a",@progbits
	.p2align	6, 0x0
	.amdhsa_kernel _Z30fast_hadamard_transform_kernelI37fast_hadamard_transform_kernel_traitsILi128ELi10E14__hip_bfloat16EEv18HadamardParamsBase
		.amdhsa_group_segment_fixed_size 0
		.amdhsa_private_segment_fixed_size 0
		.amdhsa_kernarg_size 56
		.amdhsa_user_sgpr_count 2
		.amdhsa_user_sgpr_dispatch_ptr 0
		.amdhsa_user_sgpr_queue_ptr 0
		.amdhsa_user_sgpr_kernarg_segment_ptr 1
		.amdhsa_user_sgpr_dispatch_id 0
		.amdhsa_user_sgpr_kernarg_preload_length 0
		.amdhsa_user_sgpr_kernarg_preload_offset 0
		.amdhsa_user_sgpr_private_segment_size 0
		.amdhsa_wavefront_size32 1
		.amdhsa_uses_dynamic_stack 0
		.amdhsa_enable_private_segment 0
		.amdhsa_system_sgpr_workgroup_id_x 1
		.amdhsa_system_sgpr_workgroup_id_y 0
		.amdhsa_system_sgpr_workgroup_id_z 0
		.amdhsa_system_sgpr_workgroup_info 0
		.amdhsa_system_vgpr_workitem_id 0
		.amdhsa_next_free_vgpr 25
		.amdhsa_next_free_sgpr 11
		.amdhsa_named_barrier_count 0
		.amdhsa_reserve_vcc 1
		.amdhsa_float_round_mode_32 0
		.amdhsa_float_round_mode_16_64 0
		.amdhsa_float_denorm_mode_32 3
		.amdhsa_float_denorm_mode_16_64 3
		.amdhsa_fp16_overflow 0
		.amdhsa_memory_ordered 1
		.amdhsa_forward_progress 1
		.amdhsa_inst_pref_size 16
		.amdhsa_round_robin_scheduling 0
		.amdhsa_exception_fp_ieee_invalid_op 0
		.amdhsa_exception_fp_denorm_src 0
		.amdhsa_exception_fp_ieee_div_zero 0
		.amdhsa_exception_fp_ieee_overflow 0
		.amdhsa_exception_fp_ieee_underflow 0
		.amdhsa_exception_fp_ieee_inexact 0
		.amdhsa_exception_int_div_zero 0
	.end_amdhsa_kernel
	.section	.text._Z30fast_hadamard_transform_kernelI37fast_hadamard_transform_kernel_traitsILi128ELi10E14__hip_bfloat16EEv18HadamardParamsBase,"axG",@progbits,_Z30fast_hadamard_transform_kernelI37fast_hadamard_transform_kernel_traitsILi128ELi10E14__hip_bfloat16EEv18HadamardParamsBase,comdat
.Lfunc_end33:
	.size	_Z30fast_hadamard_transform_kernelI37fast_hadamard_transform_kernel_traitsILi128ELi10E14__hip_bfloat16EEv18HadamardParamsBase, .Lfunc_end33-_Z30fast_hadamard_transform_kernelI37fast_hadamard_transform_kernel_traitsILi128ELi10E14__hip_bfloat16EEv18HadamardParamsBase
                                        ; -- End function
	.set _Z30fast_hadamard_transform_kernelI37fast_hadamard_transform_kernel_traitsILi128ELi10E14__hip_bfloat16EEv18HadamardParamsBase.num_vgpr, 25
	.set _Z30fast_hadamard_transform_kernelI37fast_hadamard_transform_kernel_traitsILi128ELi10E14__hip_bfloat16EEv18HadamardParamsBase.num_agpr, 0
	.set _Z30fast_hadamard_transform_kernelI37fast_hadamard_transform_kernel_traitsILi128ELi10E14__hip_bfloat16EEv18HadamardParamsBase.numbered_sgpr, 11
	.set _Z30fast_hadamard_transform_kernelI37fast_hadamard_transform_kernel_traitsILi128ELi10E14__hip_bfloat16EEv18HadamardParamsBase.num_named_barrier, 0
	.set _Z30fast_hadamard_transform_kernelI37fast_hadamard_transform_kernel_traitsILi128ELi10E14__hip_bfloat16EEv18HadamardParamsBase.private_seg_size, 0
	.set _Z30fast_hadamard_transform_kernelI37fast_hadamard_transform_kernel_traitsILi128ELi10E14__hip_bfloat16EEv18HadamardParamsBase.uses_vcc, 1
	.set _Z30fast_hadamard_transform_kernelI37fast_hadamard_transform_kernel_traitsILi128ELi10E14__hip_bfloat16EEv18HadamardParamsBase.uses_flat_scratch, 0
	.set _Z30fast_hadamard_transform_kernelI37fast_hadamard_transform_kernel_traitsILi128ELi10E14__hip_bfloat16EEv18HadamardParamsBase.has_dyn_sized_stack, 0
	.set _Z30fast_hadamard_transform_kernelI37fast_hadamard_transform_kernel_traitsILi128ELi10E14__hip_bfloat16EEv18HadamardParamsBase.has_recursion, 0
	.set _Z30fast_hadamard_transform_kernelI37fast_hadamard_transform_kernel_traitsILi128ELi10E14__hip_bfloat16EEv18HadamardParamsBase.has_indirect_call, 0
	.section	.AMDGPU.csdata,"",@progbits
; Kernel info:
; codeLenInByte = 1996
; TotalNumSgprs: 13
; NumVgprs: 25
; ScratchSize: 0
; MemoryBound: 0
; FloatMode: 240
; IeeeMode: 1
; LDSByteSize: 0 bytes/workgroup (compile time only)
; SGPRBlocks: 0
; VGPRBlocks: 1
; NumSGPRsForWavesPerEU: 13
; NumVGPRsForWavesPerEU: 25
; NamedBarCnt: 0
; Occupancy: 16
; WaveLimiterHint : 0
; COMPUTE_PGM_RSRC2:SCRATCH_EN: 0
; COMPUTE_PGM_RSRC2:USER_SGPR: 2
; COMPUTE_PGM_RSRC2:TRAP_HANDLER: 0
; COMPUTE_PGM_RSRC2:TGID_X_EN: 1
; COMPUTE_PGM_RSRC2:TGID_Y_EN: 0
; COMPUTE_PGM_RSRC2:TGID_Z_EN: 0
; COMPUTE_PGM_RSRC2:TIDIG_COMP_CNT: 0
	.section	.text._Z30fast_hadamard_transform_kernelI37fast_hadamard_transform_kernel_traitsILi256ELi11E14__hip_bfloat16EEv18HadamardParamsBase,"axG",@progbits,_Z30fast_hadamard_transform_kernelI37fast_hadamard_transform_kernel_traitsILi256ELi11E14__hip_bfloat16EEv18HadamardParamsBase,comdat
	.protected	_Z30fast_hadamard_transform_kernelI37fast_hadamard_transform_kernel_traitsILi256ELi11E14__hip_bfloat16EEv18HadamardParamsBase ; -- Begin function _Z30fast_hadamard_transform_kernelI37fast_hadamard_transform_kernel_traitsILi256ELi11E14__hip_bfloat16EEv18HadamardParamsBase
	.globl	_Z30fast_hadamard_transform_kernelI37fast_hadamard_transform_kernel_traitsILi256ELi11E14__hip_bfloat16EEv18HadamardParamsBase
	.p2align	8
	.type	_Z30fast_hadamard_transform_kernelI37fast_hadamard_transform_kernel_traitsILi256ELi11E14__hip_bfloat16EEv18HadamardParamsBase,@function
_Z30fast_hadamard_transform_kernelI37fast_hadamard_transform_kernel_traitsILi256ELi11E14__hip_bfloat16EEv18HadamardParamsBase: ; @_Z30fast_hadamard_transform_kernelI37fast_hadamard_transform_kernel_traitsILi256ELi11E14__hip_bfloat16EEv18HadamardParamsBase
; %bb.0:
	s_load_b32 s2, s[0:1], 0x4
	s_bfe_u32 s4, ttmp6, 0x4000c
	v_dual_mov_b32 v2, 0 :: v_dual_lshlrev_b32 v1, 3, v0
	s_add_co_i32 s4, s4, 1
	s_and_b32 s3, ttmp6, 15
	s_mul_i32 s4, ttmp9, s4
	s_getreg_b32 s5, hwreg(HW_REG_IB_STS2, 6, 4)
	s_add_co_i32 s3, s3, s4
	s_cmp_eq_u32 s5, 0
	v_dual_mov_b32 v3, v2 :: v_dual_mov_b32 v4, v2
	v_dual_mov_b32 v5, v2 :: v_dual_mov_b32 v6, v2
	;; [unrolled: 1-line block ×3, first 2 shown]
	v_mov_b32_e32 v9, v2
	s_cselect_b32 s6, ttmp9, s3
	s_delay_alu instid0(SALU_CYCLE_1)
	s_ashr_i32 s7, s6, 31
	s_wait_kmcnt 0x0
	v_cmp_gt_u32_e32 vcc_lo, s2, v1
	s_and_saveexec_b32 s2, vcc_lo
	s_cbranch_execz .LBB34_2
; %bb.1:
	s_clause 0x1
	s_load_b64 s[4:5], s[0:1], 0x10
	s_load_b64 s[8:9], s[0:1], 0x28
	s_wait_kmcnt 0x0
	s_mul_u64 s[4:5], s[4:5], s[6:7]
	s_delay_alu instid0(SALU_CYCLE_1) | instskip(NEXT) | instid1(SALU_CYCLE_1)
	s_lshl_b64 s[4:5], s[4:5], 1
	s_add_nc_u64 s[4:5], s[8:9], s[4:5]
	global_load_b128 v[10:13], v0, s[4:5] scale_offset
	s_wait_loadcnt 0x0
	v_dual_lshlrev_b32 v8, 16, v10 :: v_dual_lshlrev_b32 v6, 16, v11
	v_and_b32_e32 v9, 0xffff0000, v10
	v_and_b32_e32 v7, 0xffff0000, v11
	v_dual_lshlrev_b32 v4, 16, v12 :: v_dual_lshlrev_b32 v2, 16, v13
	v_and_b32_e32 v5, 0xffff0000, v12
	v_and_b32_e32 v3, 0xffff0000, v13
.LBB34_2:
	s_or_b32 exec_lo, exec_lo, s2
	v_mbcnt_lo_u32_b32 v1, -1, 0
	v_pk_add_f32 v[10:11], v[8:9], v[8:9] op_sel_hi:[0,1] neg_lo:[0,1] neg_hi:[0,1]
	v_add_f32_e32 v10, v8, v9
	v_pk_add_f32 v[8:9], v[6:7], v[6:7] op_sel_hi:[0,1] neg_lo:[0,1] neg_hi:[0,1]
	v_add_f32_e32 v8, v6, v7
	;; [unrolled: 2-line block ×3, first 2 shown]
	v_xor_b32_e32 v4, 1, v1
	v_pk_add_f32 v[12:13], v[2:3], v[2:3] op_sel_hi:[0,1] neg_lo:[0,1] neg_hi:[0,1]
	v_add_f32_e32 v12, v2, v3
	v_pk_add_f32 v[2:3], v[8:9], v[10:11]
	v_pk_add_f32 v[8:9], v[10:11], v[8:9] neg_lo:[0,1] neg_hi:[0,1]
	v_cmp_gt_i32_e64 s2, 32, v4
	s_barrier_signal -1
	s_barrier_wait -1
	s_delay_alu instid0(VALU_DEP_1) | instskip(SKIP_2) | instid1(VALU_DEP_2)
	v_cndmask_b32_e64 v14, v1, v4, s2
	v_pk_add_f32 v[4:5], v[12:13], v[6:7]
	v_pk_add_f32 v[6:7], v[6:7], v[12:13] neg_lo:[0,1] neg_hi:[0,1]
	v_dual_sub_f32 v15, v3, v5 :: v_dual_bitop2_b32 v16, 1, v0 bitop3:0x40
	s_delay_alu instid0(VALU_DEP_2) | instskip(NEXT) | instid1(VALU_DEP_2)
	v_sub_f32_e32 v18, v8, v6
	v_cmp_eq_u32_e64 s2, 0, v16
	v_dual_lshlrev_b32 v22, 2, v14 :: v_dual_bitop2_b32 v19, 2, v1 bitop3:0x14
	v_dual_sub_f32 v14, v2, v4 :: v_dual_sub_f32 v17, v9, v7
	v_pk_add_f32 v[2:3], v[4:5], v[2:3]
	v_pk_add_f32 v[4:5], v[6:7], v[8:9]
	v_cndmask_b32_e64 v7, -v15, v15, s2
	v_cmp_gt_i32_e64 s3, 32, v19
	ds_bpermute_b32 v10, v22, v14
	ds_bpermute_b32 v11, v22, v15
	;; [unrolled: 1-line block ×4, first 2 shown]
	v_dual_cndmask_b32 v16, v1, v19, s3 :: v_dual_cndmask_b32 v6, -v14, v14, s2
	ds_bpermute_b32 v8, v22, v2
	ds_bpermute_b32 v9, v22, v3
	;; [unrolled: 1-line block ×4, first 2 shown]
	v_dual_lshlrev_b32 v23, 2, v16 :: v_dual_cndmask_b32 v17, -v17, v17, s2
	v_dual_cndmask_b32 v16, -v18, v18, s2 :: v_dual_bitop2_b32 v18, 2, v0 bitop3:0x40
	v_dual_cndmask_b32 v3, -v3, v3, s2 :: v_dual_cndmask_b32 v2, -v2, v2, s2
	v_dual_cndmask_b32 v5, -v5, v5, s2 :: v_dual_cndmask_b32 v4, -v4, v4, s2
	s_delay_alu instid0(VALU_DEP_3)
	v_cmp_eq_u32_e64 s3, 0, v18
	v_and_b32_e32 v19, 4, v0
	s_wait_dscnt 0x6
	v_pk_add_f32 v[6:7], v[6:7], v[10:11]
	v_xor_b32_e32 v18, 4, v1
	s_wait_dscnt 0x4
	v_pk_add_f32 v[10:11], v[16:17], v[12:13]
	ds_bpermute_b32 v12, v23, v6
	s_wait_dscnt 0x3
	v_pk_add_f32 v[2:3], v[2:3], v[8:9]
	ds_bpermute_b32 v13, v23, v7
	;; [unrolled: 3-line block ×3, first 2 shown]
	ds_bpermute_b32 v17, v23, v11
	ds_bpermute_b32 v8, v23, v2
	;; [unrolled: 1-line block ×5, first 2 shown]
	v_cndmask_b32_e64 v7, -v7, v7, s3
	v_cmp_gt_i32_e64 s4, 32, v18
	v_dual_cndmask_b32 v11, -v11, v11, s3 :: v_dual_cndmask_b32 v10, -v10, v10, s3
	v_dual_cndmask_b32 v6, -v6, v6, s3 :: v_dual_cndmask_b32 v3, -v3, v3, s3
	s_delay_alu instid0(VALU_DEP_3) | instskip(SKIP_1) | instid1(VALU_DEP_2)
	v_cndmask_b32_e64 v18, v1, v18, s4
	v_dual_cndmask_b32 v2, -v2, v2, s3 :: v_dual_cndmask_b32 v5, -v5, v5, s3
	v_dual_lshlrev_b32 v24, 2, v18 :: v_dual_bitop2_b32 v18, 8, v1 bitop3:0x14
	s_wait_dscnt 0x6
	v_pk_add_f32 v[6:7], v[6:7], v[12:13]
	s_wait_dscnt 0x4
	v_pk_add_f32 v[10:11], v[10:11], v[16:17]
	v_cmp_gt_i32_e64 s4, 32, v18
	v_cndmask_b32_e64 v4, -v4, v4, s3
	s_wait_dscnt 0x2
	v_pk_add_f32 v[2:3], v[2:3], v[8:9]
	ds_bpermute_b32 v12, v24, v6
	ds_bpermute_b32 v13, v24, v7
	v_cndmask_b32_e64 v18, v1, v18, s4
	s_wait_dscnt 0x2
	v_pk_add_f32 v[4:5], v[4:5], v[14:15]
	ds_bpermute_b32 v8, v24, v10
	ds_bpermute_b32 v9, v24, v11
	;; [unrolled: 1-line block ×6, first 2 shown]
	v_cmp_eq_u32_e64 s4, 0, v19
	v_dual_lshlrev_b32 v18, 2, v18 :: v_dual_bitop2_b32 v19, 16, v1 bitop3:0x14
	s_delay_alu instid0(VALU_DEP_2) | instskip(NEXT) | instid1(VALU_DEP_2)
	v_dual_cndmask_b32 v7, -v7, v7, s4 :: v_dual_bitop2_b32 v20, 8, v0 bitop3:0x40
	v_cmp_gt_i32_e64 s5, 32, v19
	v_dual_cndmask_b32 v6, -v6, v6, s4 :: v_dual_cndmask_b32 v11, -v11, v11, s4
	v_dual_cndmask_b32 v10, -v10, v10, s4 :: v_dual_cndmask_b32 v3, -v3, v3, s4
	;; [unrolled: 1-line block ×3, first 2 shown]
	s_delay_alu instid0(VALU_DEP_4)
	v_dual_cndmask_b32 v4, -v4, v4, s4 :: v_dual_cndmask_b32 v1, v1, v19, s5
	s_wait_dscnt 0x6
	v_pk_add_f32 v[6:7], v[6:7], v[12:13]
	s_wait_dscnt 0x4
	v_pk_add_f32 v[8:9], v[10:11], v[8:9]
	;; [unrolled: 2-line block ×3, first 2 shown]
	v_cmp_eq_u32_e64 s5, 0, v20
	s_wait_dscnt 0x0
	v_pk_add_f32 v[4:5], v[4:5], v[16:17]
	ds_bpermute_b32 v10, v18, v6
	ds_bpermute_b32 v11, v18, v7
	;; [unrolled: 1-line block ×8, first 2 shown]
	v_dual_cndmask_b32 v7, -v7, v7, s5 :: v_dual_cndmask_b32 v6, -v6, v6, s5
	v_dual_cndmask_b32 v9, -v9, v9, s5 :: v_dual_cndmask_b32 v8, -v8, v8, s5
	;; [unrolled: 1-line block ×4, first 2 shown]
	v_dual_lshlrev_b32 v1, 2, v1 :: v_dual_bitop2_b32 v18, 16, v0 bitop3:0x40
	v_dual_lshrrev_b32 v19, 5, v0 :: v_dual_bitop2_b32 v20, 7, v0 bitop3:0x40
	v_lshrrev_b32_e32 v21, 3, v0
	s_wait_dscnt 0x6
	v_pk_add_f32 v[6:7], v[6:7], v[10:11]
	v_cmp_eq_u32_e64 s5, 0, v18
	s_wait_dscnt 0x4
	v_pk_add_f32 v[8:9], v[8:9], v[12:13]
	s_wait_dscnt 0x2
	v_pk_add_f32 v[2:3], v[2:3], v[14:15]
	ds_bpermute_b32 v10, v1, v6
	s_wait_dscnt 0x1
	v_pk_add_f32 v[4:5], v[4:5], v[16:17]
	ds_bpermute_b32 v12, v1, v8
	ds_bpermute_b32 v13, v1, v9
	ds_bpermute_b32 v14, v1, v2
	ds_bpermute_b32 v15, v1, v3
	ds_bpermute_b32 v16, v1, v4
	ds_bpermute_b32 v17, v1, v5
	ds_bpermute_b32 v11, v1, v7
	v_xor_b32_e32 v1, v19, v0
	v_dual_lshlrev_b32 v19, 5, v20 :: v_dual_cndmask_b32 v9, -v9, v9, s5
	v_dual_cndmask_b32 v8, -v8, v8, s5 :: v_dual_cndmask_b32 v3, -v3, v3, s5
	v_cndmask_b32_e64 v2, -v2, v2, s5
	s_delay_alu instid0(VALU_DEP_3)
	v_bitop3_b32 v25, v19, v20, v21 bitop3:0x36
	v_dual_cndmask_b32 v19, -v7, v7, s5 :: v_dual_cndmask_b32 v21, -v5, v5, s5
	v_dual_cndmask_b32 v20, -v4, v4, s5 :: v_dual_cndmask_b32 v18, -v6, v6, s5
	v_lshl_add_u32 v1, v1, 4, 0
	s_wait_dscnt 0x5
	v_pk_add_f32 v[4:5], v[8:9], v[12:13]
	s_wait_dscnt 0x3
	v_pk_add_f32 v[6:7], v[2:3], v[14:15]
	;; [unrolled: 2-line block ×4, first 2 shown]
	v_lshl_add_u32 v18, v25, 4, 0
	ds_store_b128 v1, v[6:9]
	ds_store_b128 v1, v[2:5] offset:4096
	s_wait_dscnt 0x0
	s_barrier_signal -1
	s_barrier_wait -1
	ds_load_b128 v[2:5], v18
	ds_load_b128 v[6:9], v18 offset:4096
	s_wait_dscnt 0x0
	s_barrier_signal -1
	s_barrier_wait -1
	ds_bpermute_b32 v10, v22, v2
	ds_bpermute_b32 v11, v22, v3
	;; [unrolled: 1-line block ×8, first 2 shown]
	v_dual_cndmask_b32 v3, -v3, v3, s2 :: v_dual_cndmask_b32 v2, -v2, v2, s2
	v_dual_cndmask_b32 v5, -v5, v5, s2 :: v_dual_cndmask_b32 v4, -v4, v4, s2
	;; [unrolled: 1-line block ×3, first 2 shown]
	v_cndmask_b32_e64 v9, -v9, v9, s2
	s_wait_dscnt 0x6
	v_pk_add_f32 v[2:3], v[2:3], v[10:11]
	v_cndmask_b32_e64 v8, -v8, v8, s2
	s_wait_dscnt 0x4
	v_pk_add_f32 v[4:5], v[4:5], v[12:13]
	s_wait_dscnt 0x2
	v_pk_add_f32 v[6:7], v[6:7], v[14:15]
	ds_bpermute_b32 v10, v23, v2
	ds_bpermute_b32 v11, v23, v3
	v_cndmask_b32_e64 v3, -v3, v3, s3
	s_wait_dscnt 0x2
	v_pk_add_f32 v[8:9], v[8:9], v[16:17]
	ds_bpermute_b32 v12, v23, v4
	ds_bpermute_b32 v13, v23, v5
	;; [unrolled: 1-line block ×6, first 2 shown]
	v_dual_cndmask_b32 v2, -v2, v2, s3 :: v_dual_cndmask_b32 v5, -v5, v5, s3
	v_dual_cndmask_b32 v4, -v4, v4, s3 :: v_dual_cndmask_b32 v7, -v7, v7, s3
	;; [unrolled: 1-line block ×3, first 2 shown]
	s_wait_dscnt 0x6
	s_delay_alu instid0(VALU_DEP_3)
	v_pk_add_f32 v[2:3], v[2:3], v[10:11]
	v_cndmask_b32_e64 v6, -v6, v6, s3
	s_wait_dscnt 0x4
	v_pk_add_f32 v[4:5], v[4:5], v[12:13]
	ds_bpermute_b32 v11, v24, v3
	v_cndmask_b32_e64 v3, -v3, v3, s4
	s_wait_dscnt 0x3
	v_pk_add_f32 v[6:7], v[6:7], v[14:15]
	s_wait_dscnt 0x1
	v_pk_add_f32 v[8:9], v[8:9], v[16:17]
	ds_bpermute_b32 v10, v24, v2
	ds_bpermute_b32 v12, v24, v4
	;; [unrolled: 1-line block ×7, first 2 shown]
	v_dual_cndmask_b32 v2, -v2, v2, s4 :: v_dual_cndmask_b32 v5, -v5, v5, s4
	v_dual_cndmask_b32 v4, -v4, v4, s4 :: v_dual_cndmask_b32 v7, -v7, v7, s4
	;; [unrolled: 1-line block ×3, first 2 shown]
	v_cndmask_b32_e64 v6, -v6, v6, s4
	s_wait_dscnt 0x6
	v_pk_add_f32 v[2:3], v[2:3], v[10:11]
	s_wait_dscnt 0x4
	v_pk_add_f32 v[4:5], v[4:5], v[12:13]
	;; [unrolled: 2-line block ×4, first 2 shown]
	ds_store_b128 v18, v[2:5]
	ds_store_b128 v18, v[6:9] offset:4096
	s_wait_dscnt 0x0
	s_barrier_signal -1
	s_barrier_wait -1
	s_and_saveexec_b32 s2, vcc_lo
	s_cbranch_execz .LBB34_4
; %bb.3:
	s_load_b96 s[8:10], s[0:1], 0x18
	ds_load_b128 v[2:5], v1 offset:4096
	ds_load_b128 v[6:9], v1
	s_wait_xcnt 0x0
	s_load_b64 s[0:1], s[0:1], 0x30
	s_wait_kmcnt 0x0
	s_mov_b32 s2, s10
	s_wait_dscnt 0x1
	v_pk_mul_f32 v[4:5], s[2:3], v[4:5] op_sel_hi:[0,1]
	s_wait_dscnt 0x0
	v_pk_mul_f32 v[8:9], s[2:3], v[8:9] op_sel_hi:[0,1]
	v_pk_mul_f32 v[10:11], s[2:3], v[2:3] op_sel_hi:[0,1]
	;; [unrolled: 1-line block ×3, first 2 shown]
	s_mul_u64 s[2:3], s[8:9], s[6:7]
	v_cvt_pk_bf16_f32 v5, v4, v5
	v_cvt_pk_bf16_f32 v3, v8, v9
	;; [unrolled: 1-line block ×4, first 2 shown]
	s_lshl_b64 s[2:3], s[2:3], 1
	s_delay_alu instid0(SALU_CYCLE_1)
	s_add_nc_u64 s[0:1], s[0:1], s[2:3]
	global_store_b128 v0, v[2:5], s[0:1] scale_offset
.LBB34_4:
	s_endpgm
	.section	.rodata,"a",@progbits
	.p2align	6, 0x0
	.amdhsa_kernel _Z30fast_hadamard_transform_kernelI37fast_hadamard_transform_kernel_traitsILi256ELi11E14__hip_bfloat16EEv18HadamardParamsBase
		.amdhsa_group_segment_fixed_size 0
		.amdhsa_private_segment_fixed_size 0
		.amdhsa_kernarg_size 56
		.amdhsa_user_sgpr_count 2
		.amdhsa_user_sgpr_dispatch_ptr 0
		.amdhsa_user_sgpr_queue_ptr 0
		.amdhsa_user_sgpr_kernarg_segment_ptr 1
		.amdhsa_user_sgpr_dispatch_id 0
		.amdhsa_user_sgpr_kernarg_preload_length 0
		.amdhsa_user_sgpr_kernarg_preload_offset 0
		.amdhsa_user_sgpr_private_segment_size 0
		.amdhsa_wavefront_size32 1
		.amdhsa_uses_dynamic_stack 0
		.amdhsa_enable_private_segment 0
		.amdhsa_system_sgpr_workgroup_id_x 1
		.amdhsa_system_sgpr_workgroup_id_y 0
		.amdhsa_system_sgpr_workgroup_id_z 0
		.amdhsa_system_sgpr_workgroup_info 0
		.amdhsa_system_vgpr_workitem_id 0
		.amdhsa_next_free_vgpr 26
		.amdhsa_next_free_sgpr 11
		.amdhsa_named_barrier_count 0
		.amdhsa_reserve_vcc 1
		.amdhsa_float_round_mode_32 0
		.amdhsa_float_round_mode_16_64 0
		.amdhsa_float_denorm_mode_32 3
		.amdhsa_float_denorm_mode_16_64 3
		.amdhsa_fp16_overflow 0
		.amdhsa_memory_ordered 1
		.amdhsa_forward_progress 1
		.amdhsa_inst_pref_size 17
		.amdhsa_round_robin_scheduling 0
		.amdhsa_exception_fp_ieee_invalid_op 0
		.amdhsa_exception_fp_denorm_src 0
		.amdhsa_exception_fp_ieee_div_zero 0
		.amdhsa_exception_fp_ieee_overflow 0
		.amdhsa_exception_fp_ieee_underflow 0
		.amdhsa_exception_fp_ieee_inexact 0
		.amdhsa_exception_int_div_zero 0
	.end_amdhsa_kernel
	.section	.text._Z30fast_hadamard_transform_kernelI37fast_hadamard_transform_kernel_traitsILi256ELi11E14__hip_bfloat16EEv18HadamardParamsBase,"axG",@progbits,_Z30fast_hadamard_transform_kernelI37fast_hadamard_transform_kernel_traitsILi256ELi11E14__hip_bfloat16EEv18HadamardParamsBase,comdat
.Lfunc_end34:
	.size	_Z30fast_hadamard_transform_kernelI37fast_hadamard_transform_kernel_traitsILi256ELi11E14__hip_bfloat16EEv18HadamardParamsBase, .Lfunc_end34-_Z30fast_hadamard_transform_kernelI37fast_hadamard_transform_kernel_traitsILi256ELi11E14__hip_bfloat16EEv18HadamardParamsBase
                                        ; -- End function
	.set _Z30fast_hadamard_transform_kernelI37fast_hadamard_transform_kernel_traitsILi256ELi11E14__hip_bfloat16EEv18HadamardParamsBase.num_vgpr, 26
	.set _Z30fast_hadamard_transform_kernelI37fast_hadamard_transform_kernel_traitsILi256ELi11E14__hip_bfloat16EEv18HadamardParamsBase.num_agpr, 0
	.set _Z30fast_hadamard_transform_kernelI37fast_hadamard_transform_kernel_traitsILi256ELi11E14__hip_bfloat16EEv18HadamardParamsBase.numbered_sgpr, 11
	.set _Z30fast_hadamard_transform_kernelI37fast_hadamard_transform_kernel_traitsILi256ELi11E14__hip_bfloat16EEv18HadamardParamsBase.num_named_barrier, 0
	.set _Z30fast_hadamard_transform_kernelI37fast_hadamard_transform_kernel_traitsILi256ELi11E14__hip_bfloat16EEv18HadamardParamsBase.private_seg_size, 0
	.set _Z30fast_hadamard_transform_kernelI37fast_hadamard_transform_kernel_traitsILi256ELi11E14__hip_bfloat16EEv18HadamardParamsBase.uses_vcc, 1
	.set _Z30fast_hadamard_transform_kernelI37fast_hadamard_transform_kernel_traitsILi256ELi11E14__hip_bfloat16EEv18HadamardParamsBase.uses_flat_scratch, 0
	.set _Z30fast_hadamard_transform_kernelI37fast_hadamard_transform_kernel_traitsILi256ELi11E14__hip_bfloat16EEv18HadamardParamsBase.has_dyn_sized_stack, 0
	.set _Z30fast_hadamard_transform_kernelI37fast_hadamard_transform_kernel_traitsILi256ELi11E14__hip_bfloat16EEv18HadamardParamsBase.has_recursion, 0
	.set _Z30fast_hadamard_transform_kernelI37fast_hadamard_transform_kernel_traitsILi256ELi11E14__hip_bfloat16EEv18HadamardParamsBase.has_indirect_call, 0
	.section	.AMDGPU.csdata,"",@progbits
; Kernel info:
; codeLenInByte = 2172
; TotalNumSgprs: 13
; NumVgprs: 26
; ScratchSize: 0
; MemoryBound: 0
; FloatMode: 240
; IeeeMode: 1
; LDSByteSize: 0 bytes/workgroup (compile time only)
; SGPRBlocks: 0
; VGPRBlocks: 1
; NumSGPRsForWavesPerEU: 13
; NumVGPRsForWavesPerEU: 26
; NamedBarCnt: 0
; Occupancy: 16
; WaveLimiterHint : 0
; COMPUTE_PGM_RSRC2:SCRATCH_EN: 0
; COMPUTE_PGM_RSRC2:USER_SGPR: 2
; COMPUTE_PGM_RSRC2:TRAP_HANDLER: 0
; COMPUTE_PGM_RSRC2:TGID_X_EN: 1
; COMPUTE_PGM_RSRC2:TGID_Y_EN: 0
; COMPUTE_PGM_RSRC2:TGID_Z_EN: 0
; COMPUTE_PGM_RSRC2:TIDIG_COMP_CNT: 0
	.section	.text._Z30fast_hadamard_transform_kernelI37fast_hadamard_transform_kernel_traitsILi256ELi12E14__hip_bfloat16EEv18HadamardParamsBase,"axG",@progbits,_Z30fast_hadamard_transform_kernelI37fast_hadamard_transform_kernel_traitsILi256ELi12E14__hip_bfloat16EEv18HadamardParamsBase,comdat
	.protected	_Z30fast_hadamard_transform_kernelI37fast_hadamard_transform_kernel_traitsILi256ELi12E14__hip_bfloat16EEv18HadamardParamsBase ; -- Begin function _Z30fast_hadamard_transform_kernelI37fast_hadamard_transform_kernel_traitsILi256ELi12E14__hip_bfloat16EEv18HadamardParamsBase
	.globl	_Z30fast_hadamard_transform_kernelI37fast_hadamard_transform_kernel_traitsILi256ELi12E14__hip_bfloat16EEv18HadamardParamsBase
	.p2align	8
	.type	_Z30fast_hadamard_transform_kernelI37fast_hadamard_transform_kernel_traitsILi256ELi12E14__hip_bfloat16EEv18HadamardParamsBase,@function
_Z30fast_hadamard_transform_kernelI37fast_hadamard_transform_kernel_traitsILi256ELi12E14__hip_bfloat16EEv18HadamardParamsBase: ; @_Z30fast_hadamard_transform_kernelI37fast_hadamard_transform_kernel_traitsILi256ELi12E14__hip_bfloat16EEv18HadamardParamsBase
; %bb.0:
	s_clause 0x3
	s_load_b128 s[4:7], s[0:1], 0x10
	s_load_b32 s14, s[0:1], 0x4
	s_load_b128 s[8:11], s[0:1], 0x28
	s_load_b32 s15, s[0:1], 0x44
	s_bfe_u32 s3, ttmp6, 0x4000c
	s_and_b32 s2, ttmp6, 15
	s_add_co_i32 s3, s3, 1
	s_getreg_b32 s12, hwreg(HW_REG_IB_STS2, 6, 4)
	s_mul_i32 s3, ttmp9, s3
	v_dual_mov_b32 v11, 0 :: v_dual_lshlrev_b32 v1, 3, v0
	s_add_co_i32 s2, s2, s3
	s_cmp_eq_u32 s12, 0
	v_dual_mov_b32 v2, 0 :: v_dual_mov_b32 v10, 0
	s_cselect_b32 s12, ttmp9, s2
	v_dual_mov_b32 v12, 0 :: v_dual_mov_b32 v13, 0
	s_ashr_i32 s13, s12, 31
	v_dual_mov_b32 v14, 0 :: v_dual_mov_b32 v15, 0
	s_wait_kmcnt 0x0
	s_mul_u64 s[2:3], s[4:5], s[12:13]
	v_cmp_gt_u32_e32 vcc_lo, s14, v1
	v_dual_mov_b32 v16, 0 :: v_dual_mov_b32 v17, 0
	s_lshl_b64 s[2:3], s[2:3], 1
	s_delay_alu instid0(SALU_CYCLE_1)
	s_add_nc_u64 s[2:3], s[8:9], s[2:3]
	s_and_saveexec_b32 s4, vcc_lo
	s_cbranch_execz .LBB35_2
; %bb.1:
	global_load_b128 v[4:7], v0, s[2:3] scale_offset
	s_wait_loadcnt 0x0
	v_dual_lshlrev_b32 v16, 16, v4 :: v_dual_lshlrev_b32 v14, 16, v5
	v_and_b32_e32 v17, 0xffff0000, v4
	v_and_b32_e32 v15, 0xffff0000, v5
	v_dual_lshlrev_b32 v12, 16, v6 :: v_dual_lshlrev_b32 v10, 16, v7
	v_and_b32_e32 v13, 0xffff0000, v6
	v_and_b32_e32 v11, 0xffff0000, v7
.LBB35_2:
	s_or_b32 exec_lo, exec_lo, s4
	s_load_b32 s8, s[0:1], 0x20
	s_and_b32 s4, 0xffff, s15
	s_delay_alu instid0(SALU_CYCLE_1) | instskip(SKIP_2) | instid1(VALU_DEP_3)
	v_dual_mov_b32 v3, 0 :: v_dual_add_nc_u32 v1, s4, v0
	v_dual_mov_b32 v5, 0 :: v_dual_mov_b32 v7, 0
	v_dual_mov_b32 v8, 0 :: v_dual_mov_b32 v4, 0
	v_dual_mov_b32 v9, 0 :: v_dual_lshlrev_b32 v6, 3, v1
	s_wait_xcnt 0x0
	s_delay_alu instid0(VALU_DEP_1)
	v_cmp_gt_u32_e64 s0, s14, v6
	v_mov_b32_e32 v6, 0
	s_and_saveexec_b32 s1, s0
	s_cbranch_execz .LBB35_4
; %bb.3:
	global_load_b128 v[18:21], v1, s[2:3] scale_offset
	s_wait_loadcnt 0x0
	v_dual_lshlrev_b32 v8, 16, v18 :: v_dual_lshlrev_b32 v6, 16, v19
	v_and_b32_e32 v9, 0xffff0000, v18
	v_and_b32_e32 v7, 0xffff0000, v19
	v_dual_lshlrev_b32 v4, 16, v20 :: v_dual_lshlrev_b32 v2, 16, v21
	v_and_b32_e32 v5, 0xffff0000, v20
	v_and_b32_e32 v3, 0xffff0000, v21
.LBB35_4:
	s_or_b32 exec_lo, exec_lo, s1
	v_mbcnt_lo_u32_b32 v28, -1, 0
	v_pk_add_f32 v[18:19], v[16:17], v[16:17] op_sel_hi:[0,1] neg_lo:[0,1] neg_hi:[0,1]
	v_add_f32_e32 v18, v16, v17
	v_pk_add_f32 v[16:17], v[14:15], v[14:15] op_sel_hi:[0,1] neg_lo:[0,1] neg_hi:[0,1]
	v_add_f32_e32 v16, v14, v15
	v_pk_add_f32 v[14:15], v[12:13], v[12:13] op_sel_hi:[0,1] neg_lo:[0,1] neg_hi:[0,1]
	v_dual_add_f32 v14, v12, v13 :: v_dual_bitop2_b32 v12, 1, v28 bitop3:0x14
	v_pk_add_f32 v[20:21], v[10:11], v[10:11] op_sel_hi:[0,1] neg_lo:[0,1] neg_hi:[0,1]
	v_xor_b32_e32 v29, 4, v28
	s_barrier_signal -1
	s_delay_alu instid0(VALU_DEP_3)
	v_cmp_gt_i32_e64 s1, 32, v12
	v_add_f32_e32 v20, v10, v11
	v_pk_add_f32 v[10:11], v[16:17], v[18:19]
	v_pk_add_f32 v[16:17], v[18:19], v[16:17] neg_lo:[0,1] neg_hi:[0,1]
	s_barrier_wait -1
	v_cndmask_b32_e64 v22, v28, v12, s1
	v_pk_add_f32 v[12:13], v[20:21], v[14:15]
	v_pk_add_f32 v[14:15], v[14:15], v[20:21] neg_lo:[0,1] neg_hi:[0,1]
	v_and_b32_e32 v25, 1, v0
	s_delay_alu instid0(VALU_DEP_3) | instskip(NEXT) | instid1(VALU_DEP_3)
	v_dual_lshlrev_b32 v40, 2, v22 :: v_dual_sub_f32 v22, v10, v12
	v_dual_sub_f32 v23, v11, v13 :: v_dual_sub_f32 v24, v17, v15
	s_delay_alu instid0(VALU_DEP_4) | instskip(NEXT) | instid1(VALU_DEP_4)
	v_sub_f32_e32 v26, v16, v14
	v_cmp_eq_u32_e64 s3, 0, v25
	ds_bpermute_b32 v18, v40, v22
	ds_bpermute_b32 v19, v40, v23
	;; [unrolled: 1-line block ×4, first 2 shown]
	v_dual_cndmask_b32 v23, -v23, v23, s3 :: v_dual_bitop2_b32 v27, 2, v28 bitop3:0x14
	v_pk_add_f32 v[14:15], v[14:15], v[16:17]
	v_cndmask_b32_e64 v22, -v22, v22, s3
	s_wait_kmcnt 0x0
	s_mov_b32 s9, s8
	v_cmp_gt_i32_e64 s1, 32, v27
	v_dual_lshrrev_b32 v33, 3, v0 :: v_dual_lshrrev_b32 v30, 5, v0
	s_delay_alu instid0(VALU_DEP_2) | instskip(NEXT) | instid1(VALU_DEP_1)
	v_cndmask_b32_e64 v25, v28, v27, s1
	v_dual_lshlrev_b32 v41, 2, v25 :: v_dual_cndmask_b32 v25, -v24, v24, s3
	v_cndmask_b32_e64 v24, -v26, v26, s3
	s_wait_dscnt 0x2
	v_pk_add_f32 v[18:19], v[22:23], v[18:19]
	v_add_f32_e32 v22, v8, v9
	v_pk_add_f32 v[8:9], v[8:9], v[8:9] op_sel_hi:[0,1] neg_lo:[0,1] neg_hi:[0,1]
	v_dual_add_f32 v8, v6, v7 :: v_dual_bitop2_b32 v23, 2, v0 bitop3:0x40
	s_wait_dscnt 0x0
	v_pk_add_f32 v[20:21], v[24:25], v[20:21]
	v_pk_add_f32 v[6:7], v[6:7], v[6:7] op_sel_hi:[0,1] neg_lo:[0,1] neg_hi:[0,1]
	ds_bpermute_b32 v24, v41, v18
	ds_bpermute_b32 v25, v41, v19
	v_add_f32_e32 v6, v4, v5
	ds_bpermute_b32 v26, v41, v20
	ds_bpermute_b32 v27, v41, v21
	v_cmp_gt_i32_e64 s1, 32, v29
	v_cmp_eq_u32_e64 s2, 0, v23
	v_pk_add_f32 v[4:5], v[4:5], v[4:5] op_sel_hi:[0,1] neg_lo:[0,1] neg_hi:[0,1]
	v_add_f32_e32 v4, v2, v3
	v_pk_add_f32 v[2:3], v[2:3], v[2:3] op_sel_hi:[0,1] neg_lo:[0,1] neg_hi:[0,1]
	v_cndmask_b32_e64 v23, v28, v29, s1
	v_dual_cndmask_b32 v21, -v21, v21, s2 :: v_dual_cndmask_b32 v20, -v20, v20, s2
	v_dual_cndmask_b32 v19, -v19, v19, s2 :: v_dual_cndmask_b32 v18, -v18, v18, s2
	s_delay_alu instid0(VALU_DEP_3)
	v_dual_lshlrev_b32 v42, 2, v23 :: v_dual_bitop2_b32 v2, 4, v0 bitop3:0x40
	v_dual_mov_b32 v23, v9 :: v_dual_bitop2_b32 v31, 7, v0 bitop3:0x40
	v_dual_mov_b32 v9, v7 :: v_dual_mov_b32 v7, v5
	s_wait_dscnt 0x2
	v_pk_add_f32 v[18:19], v[18:19], v[24:25]
	v_cmp_eq_u32_e64 s1, 0, v2
	v_xor_b32_e32 v34, 8, v28
	s_wait_dscnt 0x0
	v_pk_add_f32 v[20:21], v[20:21], v[26:27]
	v_mov_b32_e32 v5, v3
	ds_bpermute_b32 v25, v42, v19
	v_cndmask_b32_e64 v19, -v19, v19, s1
	v_cmp_gt_i32_e64 s4, 32, v34
	ds_bpermute_b32 v26, v42, v20
	ds_bpermute_b32 v27, v42, v21
	v_and_b32_e32 v32, 16, v0
	ds_bpermute_b32 v24, v42, v18
	v_cndmask_b32_e64 v2, v28, v34, s4
	v_dual_cndmask_b32 v18, -v18, v18, s1 :: v_dual_cndmask_b32 v21, -v21, v21, s1
	v_cndmask_b32_e64 v20, -v20, v20, s1
	s_delay_alu instid0(VALU_DEP_3) | instskip(SKIP_2) | instid1(VALU_DEP_3)
	v_dual_lshlrev_b32 v34, 2, v2 :: v_dual_bitop2_b32 v29, 8, v0 bitop3:0x40
	v_pk_add_f32 v[2:3], v[12:13], v[10:11]
	v_xor_b32_e32 v35, 16, v28
	v_cmp_eq_u32_e64 s4, 0, v29
	ds_bpermute_b32 v16, v40, v2
	ds_bpermute_b32 v17, v40, v3
	v_dual_cndmask_b32 v3, -v3, v3, s3 :: v_dual_cndmask_b32 v2, -v2, v2, s3
	s_wait_dscnt 0x3
	v_pk_add_f32 v[10:11], v[20:21], v[26:27]
	v_lshlrev_b32_e32 v27, 5, v31
	v_cmp_gt_i32_e64 s5, 32, v35
	v_xor_b32_e32 v26, v30, v0
	s_wait_dscnt 0x2
	v_pk_add_f32 v[18:19], v[18:19], v[24:25]
	ds_bpermute_b32 v20, v34, v10
	ds_bpermute_b32 v21, v34, v11
	v_dual_cndmask_b32 v28, v28, v35, s5 :: v_dual_cndmask_b32 v10, -v10, v10, s4
	ds_bpermute_b32 v24, v40, v14
	ds_bpermute_b32 v25, v40, v15
	v_dual_cndmask_b32 v11, -v11, v11, s4 :: v_dual_lshlrev_b32 v45, 2, v28
	v_cndmask_b32_e64 v15, -v15, v15, s3
	v_lshl_add_u32 v43, v26, 4, 0
	s_wait_dscnt 0x4
	v_pk_add_f32 v[2:3], v[2:3], v[16:17]
	v_bitop3_b32 v44, v27, v31, v33 bitop3:0x36
	v_pk_add_f32 v[26:27], v[8:9], v[22:23]
	v_pk_add_f32 v[28:29], v[4:5], v[6:7]
	ds_bpermute_b32 v12, v34, v18
	ds_bpermute_b32 v13, v34, v19
	v_cndmask_b32_e64 v14, -v14, v14, s3
	v_pk_add_f32 v[8:9], v[22:23], v[8:9] neg_lo:[0,1] neg_hi:[0,1]
	v_pk_add_f32 v[4:5], v[6:7], v[4:5] neg_lo:[0,1] neg_hi:[0,1]
	v_dual_sub_f32 v30, v26, v28 :: v_dual_sub_f32 v31, v27, v29
	s_wait_dscnt 0x4
	v_pk_add_f32 v[10:11], v[10:11], v[20:21]
	ds_bpermute_b32 v20, v41, v2
	ds_bpermute_b32 v21, v41, v3
	v_cndmask_b32_e64 v3, -v3, v3, s2
	s_wait_dscnt 0x4
	v_pk_add_f32 v[14:15], v[14:15], v[24:25]
	v_dual_sub_f32 v33, v8, v4 :: v_dual_sub_f32 v35, v9, v5
	v_cndmask_b32_e64 v2, -v2, v2, s2
	ds_bpermute_b32 v6, v40, v30
	ds_bpermute_b32 v7, v40, v31
	v_pk_add_f32 v[26:27], v[28:29], v[26:27]
	v_pk_add_f32 v[4:5], v[4:5], v[8:9]
	ds_bpermute_b32 v24, v41, v14
	ds_bpermute_b32 v25, v41, v15
	;; [unrolled: 1-line block ×4, first 2 shown]
	v_dual_cndmask_b32 v15, -v15, v15, s2 :: v_dual_cndmask_b32 v14, -v14, v14, s2
	ds_bpermute_b32 v28, v40, v26
	ds_bpermute_b32 v29, v40, v27
	v_dual_cndmask_b32 v19, -v19, v19, s4 :: v_dual_cndmask_b32 v18, -v18, v18, s4
	s_wait_dscnt 0x8
	v_pk_add_f32 v[2:3], v[2:3], v[20:21]
	v_dual_cndmask_b32 v21, -v31, v31, s3 :: v_dual_cndmask_b32 v20, -v30, v30, s3
	v_cndmask_b32_e64 v9, -v35, v35, s3
	ds_bpermute_b32 v30, v40, v4
	ds_bpermute_b32 v31, v40, v5
	v_pk_add_f32 v[12:13], v[18:19], v[12:13]
	v_cmp_eq_u32_e64 s5, 0, v32
	v_dual_cndmask_b32 v8, -v33, v33, s3 :: v_dual_cndmask_b32 v27, -v27, v27, s3
	s_wait_dscnt 0x8
	v_pk_add_f32 v[6:7], v[20:21], v[6:7]
	ds_bpermute_b32 v17, v45, v13
	v_dual_cndmask_b32 v13, -v13, v13, s5 :: v_dual_cndmask_b32 v26, -v26, v26, s3
	v_dual_cndmask_b32 v5, -v5, v5, s3 :: v_dual_cndmask_b32 v4, -v4, v4, s3
	s_wait_dscnt 0x7
	v_pk_add_f32 v[14:15], v[14:15], v[24:25]
	ds_bpermute_b32 v24, v42, v2
	s_wait_dscnt 0x6
	v_pk_add_f32 v[8:9], v[8:9], v[22:23]
	ds_bpermute_b32 v25, v42, v3
	ds_bpermute_b32 v22, v41, v6
	ds_bpermute_b32 v23, v41, v7
	s_wait_dscnt 0x7
	v_pk_add_f32 v[26:27], v[26:27], v[28:29]
	ds_bpermute_b32 v20, v42, v14
	ds_bpermute_b32 v21, v42, v15
	s_wait_dscnt 0x7
	v_pk_add_f32 v[4:5], v[4:5], v[30:31]
	ds_bpermute_b32 v32, v41, v8
	ds_bpermute_b32 v33, v41, v9
	;; [unrolled: 1-line block ×6, first 2 shown]
	v_dual_cndmask_b32 v3, -v3, v3, s1 :: v_dual_cndmask_b32 v2, -v2, v2, s1
	v_dual_cndmask_b32 v7, -v7, v7, s2 :: v_dual_cndmask_b32 v9, -v9, v9, s2
	;; [unrolled: 1-line block ×4, first 2 shown]
	s_wait_dscnt 0xa
	v_pk_add_f32 v[2:3], v[2:3], v[24:25]
	v_dual_cndmask_b32 v5, -v5, v5, s2 :: v_dual_cndmask_b32 v4, -v4, v4, s2
	s_wait_dscnt 0x8
	v_pk_add_f32 v[6:7], v[6:7], v[22:23]
	v_dual_cndmask_b32 v23, -v27, v27, s2 :: v_dual_cndmask_b32 v22, -v26, v26, s2
	s_wait_dscnt 0x6
	v_pk_add_f32 v[14:15], v[14:15], v[20:21]
	ds_bpermute_b32 v20, v34, v2
	ds_bpermute_b32 v21, v34, v3
	s_wait_dscnt 0x6
	v_pk_add_f32 v[8:9], v[8:9], v[32:33]
	s_wait_dscnt 0x4
	v_pk_add_f32 v[22:23], v[22:23], v[28:29]
	;; [unrolled: 2-line block ×3, first 2 shown]
	ds_bpermute_b32 v24, v42, v6
	ds_bpermute_b32 v25, v42, v7
	;; [unrolled: 1-line block ×8, first 2 shown]
	v_dual_cndmask_b32 v3, -v3, v3, s4 :: v_dual_cndmask_b32 v2, -v2, v2, s4
	ds_bpermute_b32 v27, v34, v15
	v_dual_cndmask_b32 v15, -v15, v15, s4 :: v_dual_cndmask_b32 v6, -v6, v6, s1
	v_dual_cndmask_b32 v7, -v7, v7, s1 :: v_dual_cndmask_b32 v5, -v5, v5, s1
	v_cndmask_b32_e64 v4, -v4, v4, s1
	s_wait_dscnt 0x9
	v_pk_add_f32 v[20:21], v[2:3], v[20:21]
	v_dual_cndmask_b32 v3, -v9, v9, s1 :: v_dual_cndmask_b32 v2, -v8, v8, s1
	v_dual_cndmask_b32 v9, -v23, v23, s1 :: v_dual_cndmask_b32 v8, -v22, v22, s1
	ds_bpermute_b32 v26, v34, v14
	v_cndmask_b32_e64 v14, -v14, v14, s4
	s_wait_dscnt 0x8
	v_pk_add_f32 v[6:7], v[6:7], v[24:25]
	s_wait_dscnt 0x6
	v_pk_add_f32 v[2:3], v[2:3], v[28:29]
	;; [unrolled: 2-line block ×3, first 2 shown]
	ds_bpermute_b32 v18, v45, v10
	s_wait_dscnt 0x3
	v_pk_add_f32 v[4:5], v[4:5], v[32:33]
	ds_bpermute_b32 v22, v34, v6
	ds_bpermute_b32 v23, v34, v7
	;; [unrolled: 1-line block ×8, first 2 shown]
	v_dual_cndmask_b32 v10, -v10, v10, s5 :: v_dual_cndmask_b32 v7, -v7, v7, s4
	v_dual_cndmask_b32 v6, -v6, v6, s4 :: v_dual_cndmask_b32 v3, -v3, v3, s4
	;; [unrolled: 1-line block ×3, first 2 shown]
	s_wait_dscnt 0x9
	v_pk_add_f32 v[14:15], v[14:15], v[26:27]
	v_dual_cndmask_b32 v8, -v8, v8, s4 :: v_dual_cndmask_b32 v5, -v5, v5, s4
	v_cndmask_b32_e64 v4, -v4, v4, s4
	ds_bpermute_b32 v16, v45, v12
	ds_bpermute_b32 v19, v45, v11
	;; [unrolled: 1-line block ×3, first 2 shown]
	s_wait_dscnt 0x9
	v_pk_add_f32 v[6:7], v[6:7], v[22:23]
	ds_bpermute_b32 v32, v45, v14
	s_wait_dscnt 0x8
	v_pk_add_f32 v[22:23], v[2:3], v[24:25]
	ds_bpermute_b32 v33, v45, v15
	s_wait_dscnt 0x7
	v_pk_add_f32 v[24:25], v[8:9], v[28:29]
	v_cndmask_b32_e64 v9, -v15, v15, s5
	s_wait_dscnt 0x5
	v_pk_add_f32 v[28:29], v[4:5], v[30:31]
	ds_bpermute_b32 v27, v45, v21
	ds_bpermute_b32 v30, v45, v6
	;; [unrolled: 1-line block ×9, first 2 shown]
	v_dual_cndmask_b32 v12, -v12, v12, s5 :: v_dual_cndmask_b32 v11, -v11, v11, s5
	v_dual_cndmask_b32 v8, -v14, v14, s5 :: v_dual_cndmask_b32 v15, -v25, v25, s5
	v_cndmask_b32_e64 v14, -v24, v24, s5
	s_wait_dscnt 0xd
	s_delay_alu instid0(VALU_DEP_3)
	v_pk_add_f32 v[2:3], v[12:13], v[16:17]
	s_wait_dscnt 0xc
	v_pk_add_f32 v[4:5], v[10:11], v[18:19]
	v_dual_cndmask_b32 v11, -v21, v21, s5 :: v_dual_cndmask_b32 v10, -v20, v20, s5
	v_dual_cndmask_b32 v19, -v7, v7, s5 :: v_dual_cndmask_b32 v17, -v29, v29, s5
	;; [unrolled: 1-line block ×3, first 2 shown]
	v_cndmask_b32_e64 v12, -v22, v22, s5
	v_cndmask_b32_e64 v18, -v6, v6, s5
	s_wait_dscnt 0x9
	v_pk_add_f32 v[8:9], v[8:9], v[32:33]
	s_wait_dscnt 0x8
	v_pk_add_f32 v[6:7], v[10:11], v[26:27]
	;; [unrolled: 2-line block ×3, first 2 shown]
	v_lshl_add_u32 v38, v44, 4, 0
	v_pk_add_f32 v[14:15], v[14:15], v[36:37]
	s_wait_dscnt 0x1
	v_pk_add_f32 v[12:13], v[12:13], v[34:35]
	s_wait_dscnt 0x0
	v_pk_add_f32 v[10:11], v[18:19], v[30:31]
	ds_store_b128 v43, v[6:9]
	ds_store_b128 v43, v[2:5] offset:4096
	ds_store_b128 v43, v[14:17] offset:8192
	;; [unrolled: 1-line block ×3, first 2 shown]
	s_wait_dscnt 0x0
	s_barrier_signal -1
	s_barrier_wait -1
	ds_load_b128 v[2:5], v38
	ds_load_b128 v[6:9], v38 offset:4096
	s_wait_dscnt 0x1
	ds_bpermute_b32 v10, v40, v2
	ds_bpermute_b32 v11, v40, v3
	ds_bpermute_b32 v12, v40, v4
	ds_bpermute_b32 v13, v40, v5
	v_dual_cndmask_b32 v3, -v3, v3, s3 :: v_dual_cndmask_b32 v2, -v2, v2, s3
	v_cndmask_b32_e64 v5, -v5, v5, s3
	s_wait_dscnt 0x4
	ds_bpermute_b32 v18, v40, v6
	ds_bpermute_b32 v19, v40, v7
	;; [unrolled: 1-line block ×4, first 2 shown]
	v_dual_cndmask_b32 v7, -v7, v7, s3 :: v_dual_cndmask_b32 v9, -v9, v9, s3
	v_cndmask_b32_e64 v8, -v8, v8, s3
	s_wait_dscnt 0x6
	v_pk_add_f32 v[2:3], v[2:3], v[10:11]
	s_delay_alu instid0(VALU_DEP_1) | instskip(SKIP_1) | instid1(VALU_DEP_1)
	v_dual_cndmask_b32 v4, -v4, v4, s3 :: v_dual_cndmask_b32 v17, -v3, v3, s2
	s_wait_dscnt 0x4
	v_pk_add_f32 v[10:11], v[4:5], v[12:13]
	ds_bpermute_b32 v12, v41, v2
	ds_bpermute_b32 v13, v41, v3
	v_cndmask_b32_e64 v16, -v2, v2, s2
	ds_load_b128 v[2:5], v38 offset:8192
	ds_bpermute_b32 v14, v41, v10
	ds_bpermute_b32 v15, v41, v11
	v_dual_cndmask_b32 v11, -v11, v11, s2 :: v_dual_cndmask_b32 v10, -v10, v10, s2
	s_wait_dscnt 0x5
	v_pk_add_f32 v[8:9], v[8:9], v[20:21]
	ds_bpermute_b32 v28, v41, v8
	ds_bpermute_b32 v29, v41, v9
	v_cndmask_b32_e64 v9, -v9, v9, s2
	s_wait_dscnt 0x5
	v_pk_add_f32 v[16:17], v[16:17], v[12:13]
	v_cndmask_b32_e64 v6, -v6, v6, s3
	s_wait_dscnt 0x2
	v_pk_add_f32 v[14:15], v[10:11], v[14:15]
	ds_load_b128 v[10:13], v38 offset:12288
	ds_bpermute_b32 v23, v42, v17
	v_cndmask_b32_e64 v17, -v17, v17, s1
	v_pk_add_f32 v[6:7], v[6:7], v[18:19]
	ds_bpermute_b32 v18, v40, v2
	ds_bpermute_b32 v19, v40, v3
	;; [unrolled: 1-line block ×6, first 2 shown]
	v_dual_cndmask_b32 v3, -v3, v3, s3 :: v_dual_cndmask_b32 v5, -v5, v5, s3
	v_dual_cndmask_b32 v4, -v4, v4, s3 :: v_dual_cndmask_b32 v2, -v2, v2, s3
	v_cndmask_b32_e64 v8, -v8, v8, s2
	ds_bpermute_b32 v22, v42, v16
	ds_bpermute_b32 v25, v42, v15
	v_dual_cndmask_b32 v16, -v16, v16, s1 :: v_dual_cndmask_b32 v7, -v7, v7, s2
	v_cndmask_b32_e64 v6, -v6, v6, s2
	s_wait_dscnt 0x9
	ds_bpermute_b32 v30, v40, v10
	ds_bpermute_b32 v31, v40, v11
	;; [unrolled: 1-line block ×4, first 2 shown]
	v_cndmask_b32_e64 v11, -v11, v11, s3
	s_wait_dscnt 0xa
	v_pk_add_f32 v[2:3], v[2:3], v[18:19]
	v_dual_cndmask_b32 v10, -v10, v10, s3 :: v_dual_cndmask_b32 v13, -v13, v13, s3
	v_dual_cndmask_b32 v12, -v12, v12, s3 :: v_dual_cndmask_b32 v15, -v15, v15, s1
	s_wait_dscnt 0x8
	v_pk_add_f32 v[4:5], v[4:5], v[20:21]
	ds_bpermute_b32 v18, v41, v2
	ds_bpermute_b32 v19, v41, v3
	s_wait_dscnt 0x8
	v_pk_add_f32 v[6:7], v[6:7], v[26:27]
	ds_bpermute_b32 v24, v42, v14
	ds_bpermute_b32 v20, v41, v4
	;; [unrolled: 1-line block ×3, first 2 shown]
	v_dual_cndmask_b32 v14, -v14, v14, s1 :: v_dual_cndmask_b32 v3, -v3, v3, s2
	v_dual_cndmask_b32 v2, -v2, v2, s2 :: v_dual_cndmask_b32 v5, -v5, v5, s2
	s_wait_dscnt 0x7
	v_pk_add_f32 v[10:11], v[10:11], v[30:31]
	v_cndmask_b32_e64 v4, -v4, v4, s2
	s_wait_dscnt 0x5
	v_pk_add_f32 v[12:13], v[12:13], v[32:33]
	v_pk_add_f32 v[8:9], v[8:9], v[28:29]
	ds_bpermute_b32 v28, v42, v6
	ds_bpermute_b32 v26, v41, v10
	;; [unrolled: 1-line block ×6, first 2 shown]
	v_cndmask_b32_e64 v9, -v9, v9, s1
	s_wait_dscnt 0x9
	v_pk_add_f32 v[18:19], v[2:3], v[18:19]
	v_dual_cndmask_b32 v3, -v11, v11, s2 :: v_dual_cndmask_b32 v2, -v10, v10, s2
	v_dual_cndmask_b32 v11, -v13, v13, s2 :: v_dual_cndmask_b32 v10, -v12, v12, s2
	s_wait_dscnt 0x6
	v_pk_add_f32 v[12:13], v[4:5], v[20:21]
	ds_bpermute_b32 v32, v42, v8
	ds_bpermute_b32 v29, v42, v7
	;; [unrolled: 1-line block ×4, first 2 shown]
	v_dual_cndmask_b32 v8, -v8, v8, s1 :: v_dual_cndmask_b32 v7, -v7, v7, s1
	v_cndmask_b32_e64 v6, -v6, v6, s1
	v_pk_add_f32 v[4:5], v[14:15], v[24:25]
	v_cndmask_b32_e64 v15, -v19, v19, s1
	s_wait_dscnt 0x7
	v_pk_add_f32 v[26:27], v[2:3], v[26:27]
	v_cndmask_b32_e64 v14, -v18, v18, s1
	s_wait_dscnt 0x5
	v_pk_add_f32 v[10:11], v[10:11], v[30:31]
	ds_bpermute_b32 v30, v42, v12
	ds_bpermute_b32 v31, v42, v13
	;; [unrolled: 1-line block ×6, first 2 shown]
	v_dual_cndmask_b32 v13, -v13, v13, s1 :: v_dual_cndmask_b32 v12, -v12, v12, s1
	v_cndmask_b32_e64 v19, -v27, v27, s1
	v_pk_add_f32 v[2:3], v[16:17], v[22:23]
	v_dual_cndmask_b32 v17, -v11, v11, s1 :: v_dual_cndmask_b32 v16, -v10, v10, s1
	v_cndmask_b32_e64 v18, -v26, v26, s1
	s_wait_dscnt 0x9
	v_pk_add_f32 v[8:9], v[8:9], v[32:33]
	s_wait_dscnt 0x8
	v_pk_add_f32 v[6:7], v[6:7], v[28:29]
	;; [unrolled: 2-line block ×3, first 2 shown]
	s_wait_dscnt 0x0
	s_barrier_signal -1
	s_barrier_wait -1
	s_mul_u64 s[2:3], s[6:7], s[12:13]
	v_pk_add_f32 v[12:13], v[12:13], v[30:31]
	s_lshl_b64 s[2:3], s[2:3], 1
	v_pk_add_f32 v[14:15], v[18:19], v[34:35]
	s_add_nc_u64 s[2:3], s[10:11], s[2:3]
	v_pk_add_f32 v[16:17], v[16:17], v[36:37]
	ds_store_b128 v38, v[2:5]
	ds_store_b128 v38, v[6:9] offset:4096
	ds_store_b128 v38, v[10:13] offset:8192
	;; [unrolled: 1-line block ×3, first 2 shown]
	s_wait_dscnt 0x0
	s_barrier_signal -1
	s_barrier_wait -1
	ds_load_b128 v[2:5], v43
	ds_load_b128 v[10:13], v43 offset:4096
	ds_load_b128 v[6:9], v43 offset:8192
	;; [unrolled: 1-line block ×3, first 2 shown]
	s_and_saveexec_b32 s1, vcc_lo
	s_cbranch_execnz .LBB35_7
; %bb.5:
	s_or_b32 exec_lo, exec_lo, s1
	s_and_saveexec_b32 s1, s0
	s_cbranch_execnz .LBB35_8
.LBB35_6:
	s_endpgm
.LBB35_7:
	s_mov_b32 s4, s8
	s_mov_b32 s5, s8
	v_mov_b64_e32 v[24:25], s[8:9]
	v_mov_b64_e32 v[20:21], s[4:5]
	s_wait_dscnt 0x1
	v_pk_add_f32 v[18:19], v[4:5], v[8:9]
	s_wait_dscnt 0x0
	v_pk_add_f32 v[22:23], v[12:13], v[16:17]
	v_pk_add_f32 v[26:27], v[10:11], v[14:15]
	;; [unrolled: 1-line block ×3, first 2 shown]
	s_delay_alu instid0(VALU_DEP_3) | instskip(SKIP_1) | instid1(VALU_DEP_4)
	v_pk_mul_f32 v[22:23], v[20:21], v[22:23]
	v_pk_mul_f32 v[18:19], v[20:21], v[18:19]
	;; [unrolled: 1-line block ×3, first 2 shown]
	s_delay_alu instid0(VALU_DEP_4) | instskip(NEXT) | instid1(VALU_DEP_4)
	v_pk_mul_f32 v[24:25], v[24:25], v[28:29]
	v_cvt_pk_bf16_f32 v21, v22, v23
	s_delay_alu instid0(VALU_DEP_4) | instskip(NEXT) | instid1(VALU_DEP_4)
	v_cvt_pk_bf16_f32 v19, v18, v19
	v_cvt_pk_bf16_f32 v20, v26, v27
	s_delay_alu instid0(VALU_DEP_4)
	v_cvt_pk_bf16_f32 v18, v24, v25
	global_store_b128 v0, v[18:21], s[2:3] scale_offset
	s_wait_xcnt 0x0
	s_or_b32 exec_lo, exec_lo, s1
	s_and_saveexec_b32 s1, s0
	s_cbranch_execz .LBB35_6
.LBB35_8:
	s_mov_b32 s0, s8
	s_mov_b32 s1, s8
	v_mov_b64_e32 v[20:21], s[8:9]
	v_mov_b64_e32 v[18:19], s[0:1]
	s_wait_dscnt 0x1
	v_dual_sub_f32 v3, v3, v7 :: v_dual_sub_f32 v5, v5, v9
	s_wait_dscnt 0x0
	v_dual_sub_f32 v11, v11, v15 :: v_dual_sub_f32 v13, v13, v17
	v_dual_sub_f32 v12, v12, v16 :: v_dual_sub_f32 v10, v10, v14
	;; [unrolled: 1-line block ×3, first 2 shown]
	s_delay_alu instid0(VALU_DEP_2) | instskip(NEXT) | instid1(VALU_DEP_3)
	v_pk_mul_f32 v[6:7], v[18:19], v[12:13]
	v_pk_mul_f32 v[8:9], v[20:21], v[10:11]
	s_delay_alu instid0(VALU_DEP_3) | instskip(NEXT) | instid1(VALU_DEP_4)
	v_pk_mul_f32 v[10:11], v[18:19], v[4:5]
	v_pk_mul_f32 v[12:13], v[20:21], v[2:3]
	s_delay_alu instid0(VALU_DEP_4) | instskip(NEXT) | instid1(VALU_DEP_4)
	v_cvt_pk_bf16_f32 v5, v6, v7
	v_cvt_pk_bf16_f32 v4, v8, v9
	s_delay_alu instid0(VALU_DEP_4) | instskip(NEXT) | instid1(VALU_DEP_4)
	v_cvt_pk_bf16_f32 v3, v10, v11
	v_cvt_pk_bf16_f32 v2, v12, v13
	global_store_b128 v1, v[2:5], s[2:3] scale_offset
	s_endpgm
	.section	.rodata,"a",@progbits
	.p2align	6, 0x0
	.amdhsa_kernel _Z30fast_hadamard_transform_kernelI37fast_hadamard_transform_kernel_traitsILi256ELi12E14__hip_bfloat16EEv18HadamardParamsBase
		.amdhsa_group_segment_fixed_size 0
		.amdhsa_private_segment_fixed_size 0
		.amdhsa_kernarg_size 312
		.amdhsa_user_sgpr_count 2
		.amdhsa_user_sgpr_dispatch_ptr 0
		.amdhsa_user_sgpr_queue_ptr 0
		.amdhsa_user_sgpr_kernarg_segment_ptr 1
		.amdhsa_user_sgpr_dispatch_id 0
		.amdhsa_user_sgpr_kernarg_preload_length 0
		.amdhsa_user_sgpr_kernarg_preload_offset 0
		.amdhsa_user_sgpr_private_segment_size 0
		.amdhsa_wavefront_size32 1
		.amdhsa_uses_dynamic_stack 0
		.amdhsa_enable_private_segment 0
		.amdhsa_system_sgpr_workgroup_id_x 1
		.amdhsa_system_sgpr_workgroup_id_y 0
		.amdhsa_system_sgpr_workgroup_id_z 0
		.amdhsa_system_sgpr_workgroup_info 0
		.amdhsa_system_vgpr_workitem_id 0
		.amdhsa_next_free_vgpr 46
		.amdhsa_next_free_sgpr 16
		.amdhsa_named_barrier_count 0
		.amdhsa_reserve_vcc 1
		.amdhsa_float_round_mode_32 0
		.amdhsa_float_round_mode_16_64 0
		.amdhsa_float_denorm_mode_32 3
		.amdhsa_float_denorm_mode_16_64 3
		.amdhsa_fp16_overflow 0
		.amdhsa_memory_ordered 1
		.amdhsa_forward_progress 1
		.amdhsa_inst_pref_size 32
		.amdhsa_round_robin_scheduling 0
		.amdhsa_exception_fp_ieee_invalid_op 0
		.amdhsa_exception_fp_denorm_src 0
		.amdhsa_exception_fp_ieee_div_zero 0
		.amdhsa_exception_fp_ieee_overflow 0
		.amdhsa_exception_fp_ieee_underflow 0
		.amdhsa_exception_fp_ieee_inexact 0
		.amdhsa_exception_int_div_zero 0
	.end_amdhsa_kernel
	.section	.text._Z30fast_hadamard_transform_kernelI37fast_hadamard_transform_kernel_traitsILi256ELi12E14__hip_bfloat16EEv18HadamardParamsBase,"axG",@progbits,_Z30fast_hadamard_transform_kernelI37fast_hadamard_transform_kernel_traitsILi256ELi12E14__hip_bfloat16EEv18HadamardParamsBase,comdat
.Lfunc_end35:
	.size	_Z30fast_hadamard_transform_kernelI37fast_hadamard_transform_kernel_traitsILi256ELi12E14__hip_bfloat16EEv18HadamardParamsBase, .Lfunc_end35-_Z30fast_hadamard_transform_kernelI37fast_hadamard_transform_kernel_traitsILi256ELi12E14__hip_bfloat16EEv18HadamardParamsBase
                                        ; -- End function
	.set _Z30fast_hadamard_transform_kernelI37fast_hadamard_transform_kernel_traitsILi256ELi12E14__hip_bfloat16EEv18HadamardParamsBase.num_vgpr, 46
	.set _Z30fast_hadamard_transform_kernelI37fast_hadamard_transform_kernel_traitsILi256ELi12E14__hip_bfloat16EEv18HadamardParamsBase.num_agpr, 0
	.set _Z30fast_hadamard_transform_kernelI37fast_hadamard_transform_kernel_traitsILi256ELi12E14__hip_bfloat16EEv18HadamardParamsBase.numbered_sgpr, 16
	.set _Z30fast_hadamard_transform_kernelI37fast_hadamard_transform_kernel_traitsILi256ELi12E14__hip_bfloat16EEv18HadamardParamsBase.num_named_barrier, 0
	.set _Z30fast_hadamard_transform_kernelI37fast_hadamard_transform_kernel_traitsILi256ELi12E14__hip_bfloat16EEv18HadamardParamsBase.private_seg_size, 0
	.set _Z30fast_hadamard_transform_kernelI37fast_hadamard_transform_kernel_traitsILi256ELi12E14__hip_bfloat16EEv18HadamardParamsBase.uses_vcc, 1
	.set _Z30fast_hadamard_transform_kernelI37fast_hadamard_transform_kernel_traitsILi256ELi12E14__hip_bfloat16EEv18HadamardParamsBase.uses_flat_scratch, 0
	.set _Z30fast_hadamard_transform_kernelI37fast_hadamard_transform_kernel_traitsILi256ELi12E14__hip_bfloat16EEv18HadamardParamsBase.has_dyn_sized_stack, 0
	.set _Z30fast_hadamard_transform_kernelI37fast_hadamard_transform_kernel_traitsILi256ELi12E14__hip_bfloat16EEv18HadamardParamsBase.has_recursion, 0
	.set _Z30fast_hadamard_transform_kernelI37fast_hadamard_transform_kernel_traitsILi256ELi12E14__hip_bfloat16EEv18HadamardParamsBase.has_indirect_call, 0
	.section	.AMDGPU.csdata,"",@progbits
; Kernel info:
; codeLenInByte = 4092
; TotalNumSgprs: 18
; NumVgprs: 46
; ScratchSize: 0
; MemoryBound: 0
; FloatMode: 240
; IeeeMode: 1
; LDSByteSize: 0 bytes/workgroup (compile time only)
; SGPRBlocks: 0
; VGPRBlocks: 2
; NumSGPRsForWavesPerEU: 18
; NumVGPRsForWavesPerEU: 46
; NamedBarCnt: 0
; Occupancy: 16
; WaveLimiterHint : 0
; COMPUTE_PGM_RSRC2:SCRATCH_EN: 0
; COMPUTE_PGM_RSRC2:USER_SGPR: 2
; COMPUTE_PGM_RSRC2:TRAP_HANDLER: 0
; COMPUTE_PGM_RSRC2:TGID_X_EN: 1
; COMPUTE_PGM_RSRC2:TGID_Y_EN: 0
; COMPUTE_PGM_RSRC2:TGID_Z_EN: 0
; COMPUTE_PGM_RSRC2:TIDIG_COMP_CNT: 0
	.section	.text._Z30fast_hadamard_transform_kernelI37fast_hadamard_transform_kernel_traitsILi256ELi13E14__hip_bfloat16EEv18HadamardParamsBase,"axG",@progbits,_Z30fast_hadamard_transform_kernelI37fast_hadamard_transform_kernel_traitsILi256ELi13E14__hip_bfloat16EEv18HadamardParamsBase,comdat
	.protected	_Z30fast_hadamard_transform_kernelI37fast_hadamard_transform_kernel_traitsILi256ELi13E14__hip_bfloat16EEv18HadamardParamsBase ; -- Begin function _Z30fast_hadamard_transform_kernelI37fast_hadamard_transform_kernel_traitsILi256ELi13E14__hip_bfloat16EEv18HadamardParamsBase
	.globl	_Z30fast_hadamard_transform_kernelI37fast_hadamard_transform_kernel_traitsILi256ELi13E14__hip_bfloat16EEv18HadamardParamsBase
	.p2align	8
	.type	_Z30fast_hadamard_transform_kernelI37fast_hadamard_transform_kernel_traitsILi256ELi13E14__hip_bfloat16EEv18HadamardParamsBase,@function
_Z30fast_hadamard_transform_kernelI37fast_hadamard_transform_kernel_traitsILi256ELi13E14__hip_bfloat16EEv18HadamardParamsBase: ; @_Z30fast_hadamard_transform_kernelI37fast_hadamard_transform_kernel_traitsILi256ELi13E14__hip_bfloat16EEv18HadamardParamsBase
; %bb.0:
	s_clause 0x1
	s_load_b128 s[8:11], s[0:1], 0x10
	s_load_b32 s6, s[0:1], 0x4
	s_bfe_u32 s2, ttmp6, 0x4000c
	s_load_b128 s[12:15], s[0:1], 0x28
	s_add_co_i32 s5, s2, 1
	s_load_b32 s2, s[0:1], 0x44
	s_and_b32 s3, ttmp6, 15
	s_mul_i32 s5, ttmp9, s5
	s_getreg_b32 s4, hwreg(HW_REG_IB_STS2, 6, 4)
	s_add_co_i32 s3, s3, s5
	s_cmp_eq_u32 s4, 0
	v_dual_mov_b32 v5, 0 :: v_dual_lshlrev_b32 v1, 3, v0
	s_cselect_b32 s16, ttmp9, s3
	v_dual_mov_b32 v8, 0 :: v_dual_mov_b32 v4, 0
	s_ashr_i32 s17, s16, 31
	v_dual_mov_b32 v12, 0 :: v_dual_mov_b32 v13, 0
	v_dual_mov_b32 v26, 0 :: v_dual_mov_b32 v27, 0
	s_wait_kmcnt 0x0
	s_mul_u64 s[4:5], s[8:9], s[16:17]
	v_cmp_gt_u32_e64 s3, s6, v1
	v_dual_mov_b32 v2, 0 :: v_dual_mov_b32 v3, 0
	s_lshl_b64 s[4:5], s[4:5], 1
	s_delay_alu instid0(SALU_CYCLE_1)
	s_add_nc_u64 s[4:5], s[12:13], s[4:5]
	s_and_saveexec_b32 s7, s3
	s_cbranch_execz .LBB36_2
; %bb.1:
	global_load_b128 v[4:7], v0, s[4:5] scale_offset
	s_wait_loadcnt 0x0
	v_dual_lshlrev_b32 v2, 16, v4 :: v_dual_lshlrev_b32 v26, 16, v5
	v_and_b32_e32 v3, 0xffff0000, v4
	v_and_b32_e32 v27, 0xffff0000, v5
	v_dual_lshlrev_b32 v12, 16, v6 :: v_dual_lshlrev_b32 v4, 16, v7
	v_and_b32_e32 v13, 0xffff0000, v6
	v_and_b32_e32 v5, 0xffff0000, v7
.LBB36_2:
	s_or_b32 exec_lo, exec_lo, s7
	s_and_b32 s7, 0xffff, s2
	v_dual_mov_b32 v7, 0 :: v_dual_mov_b32 v14, 0
	v_dual_add_nc_u32 v51, s7, v0 :: v_dual_mov_b32 v9, 0
	v_dual_mov_b32 v6, 0 :: v_dual_mov_b32 v15, 0
	s_delay_alu instid0(VALU_DEP_2) | instskip(SKIP_1) | instid1(VALU_DEP_2)
	v_dual_mov_b32 v10, 0 :: v_dual_lshlrev_b32 v1, 3, v51
	v_mov_b32_e32 v11, 0
	v_cmp_gt_u32_e32 vcc_lo, s6, v1
	s_and_saveexec_b32 s2, vcc_lo
	s_cbranch_execz .LBB36_4
; %bb.3:
	global_load_b128 v[6:9], v51, s[4:5] scale_offset
	s_wait_loadcnt 0x0
	v_dual_lshlrev_b32 v10, 16, v6 :: v_dual_lshlrev_b32 v14, 16, v7
	v_and_b32_e32 v11, 0xffff0000, v6
	v_and_b32_e32 v15, 0xffff0000, v7
	v_lshlrev_b32_e32 v6, 16, v8
	v_and_b32_e32 v7, 0xffff0000, v8
	v_lshlrev_b32_e32 v8, 16, v9
	v_and_b32_e32 v9, 0xffff0000, v9
.LBB36_4:
	s_or_b32 exec_lo, exec_lo, s2
	v_dual_add_nc_u32 v50, s7, v51 :: v_dual_mov_b32 v16, 0
	v_dual_mov_b32 v20, 0 :: v_dual_mov_b32 v18, 0
	s_delay_alu instid0(VALU_DEP_2) | instskip(SKIP_2) | instid1(VALU_DEP_3)
	v_dual_mov_b32 v19, 0 :: v_dual_lshlrev_b32 v1, 3, v50
	v_dual_mov_b32 v21, 0 :: v_dual_mov_b32 v22, 0
	v_dual_mov_b32 v23, 0 :: v_dual_mov_b32 v30, 0
	v_cmp_gt_u32_e64 s2, s6, v1
	v_mov_b32_e32 v31, 0
	s_and_saveexec_b32 s8, s2
	s_cbranch_execz .LBB36_6
; %bb.5:
	global_load_b128 v[22:25], v50, s[4:5] scale_offset
	s_wait_loadcnt 0x0
	v_lshlrev_b32_e32 v30, 16, v22
	v_and_b32_e32 v31, 0xffff0000, v22
	v_lshlrev_b32_e32 v22, 16, v23
	v_and_b32_e32 v23, 0xffff0000, v23
	v_dual_lshlrev_b32 v20, 16, v24 :: v_dual_lshlrev_b32 v18, 16, v25
	v_and_b32_e32 v21, 0xffff0000, v24
	v_and_b32_e32 v19, 0xffff0000, v25
.LBB36_6:
	s_or_b32 exec_lo, exec_lo, s8
	s_load_b32 s8, s[0:1], 0x20
	v_dual_mov_b32 v17, 0 :: v_dual_add_nc_u32 v52, s7, v50
	v_dual_mov_b32 v25, 0 :: v_dual_mov_b32 v28, 0
	s_delay_alu instid0(VALU_DEP_2) | instskip(SKIP_3) | instid1(VALU_DEP_3)
	v_dual_mov_b32 v24, 0 :: v_dual_lshlrev_b32 v1, 3, v52
	v_dual_mov_b32 v29, 0 :: v_dual_mov_b32 v32, 0
	v_mov_b32_e32 v33, 0
	s_wait_xcnt 0x0
	v_cmp_gt_u32_e64 s0, s6, v1
	s_and_saveexec_b32 s1, s0
	s_cbranch_execz .LBB36_8
; %bb.7:
	global_load_b128 v[34:37], v52, s[4:5] scale_offset
	s_wait_loadcnt 0x0
	v_dual_lshlrev_b32 v32, 16, v34 :: v_dual_lshlrev_b32 v28, 16, v35
	v_and_b32_e32 v33, 0xffff0000, v34
	v_and_b32_e32 v29, 0xffff0000, v35
	v_dual_lshlrev_b32 v24, 16, v36 :: v_dual_lshlrev_b32 v16, 16, v37
	v_and_b32_e32 v25, 0xffff0000, v36
	v_and_b32_e32 v17, 0xffff0000, v37
.LBB36_8:
	s_or_b32 exec_lo, exec_lo, s1
	v_mbcnt_lo_u32_b32 v48, -1, 0
	v_pk_add_f32 v[34:35], v[2:3], v[2:3] op_sel_hi:[0,1] neg_lo:[0,1] neg_hi:[0,1]
	v_pk_add_f32 v[36:37], v[10:11], v[10:11] op_sel_hi:[0,1] neg_lo:[0,1] neg_hi:[0,1]
	v_add_f32_e32 v34, v2, v3
	v_pk_add_f32 v[2:3], v[30:31], v[30:31] op_sel_hi:[0,1] neg_lo:[0,1] neg_hi:[0,1]
	v_dual_add_f32 v36, v10, v11 :: v_dual_add_f32 v2, v32, v33
	v_dual_add_f32 v10, v30, v31 :: v_dual_add_f32 v40, v12, v13
	v_pk_add_f32 v[30:31], v[26:27], v[26:27] op_sel_hi:[0,1] neg_lo:[0,1] neg_hi:[0,1]
	v_dual_add_f32 v30, v26, v27 :: v_dual_bitop2_b32 v1, 1, v48 bitop3:0x14
	v_pk_add_f32 v[26:27], v[12:13], v[12:13] op_sel_hi:[0,1] neg_lo:[0,1] neg_hi:[0,1]
	v_pk_add_f32 v[38:39], v[4:5], v[4:5] op_sel_hi:[0,1] neg_lo:[0,1] neg_hi:[0,1]
	v_dual_add_f32 v38, v4, v5 :: v_dual_mov_b32 v11, v3
	s_delay_alu instid0(VALU_DEP_4) | instskip(NEXT) | instid1(VALU_DEP_4)
	v_cmp_gt_i32_e64 s1, 32, v1
	v_mov_b32_e32 v41, v27
	v_pk_add_f32 v[32:33], v[32:33], v[32:33] op_sel_hi:[0,1] neg_lo:[0,1] neg_hi:[0,1]
	v_pk_add_f32 v[42:43], v[30:31], v[34:35]
	v_pk_add_f32 v[4:5], v[14:15], v[14:15] op_sel_hi:[0,1] neg_lo:[0,1] neg_hi:[0,1]
	v_cndmask_b32_e64 v1, v48, v1, s1
	v_pk_add_f32 v[44:45], v[38:39], v[40:41]
	v_mov_b32_e32 v3, v33
	v_pk_add_f32 v[12:13], v[22:23], v[22:23] op_sel_hi:[0,1] neg_lo:[0,1] neg_hi:[0,1]
	s_delay_alu instid0(VALU_DEP_4) | instskip(NEXT) | instid1(VALU_DEP_4)
	v_dual_add_f32 v12, v22, v23 :: v_dual_lshlrev_b32 v26, 2, v1
	v_dual_sub_f32 v1, v42, v44 :: v_dual_sub_f32 v27, v43, v45
	v_dual_add_f32 v32, v14, v15 :: v_dual_mov_b32 v33, v5
	v_pk_add_f32 v[4:5], v[28:29], v[28:29] op_sel_hi:[0,1] neg_lo:[0,1] neg_hi:[0,1]
	ds_bpermute_b32 v22, v26, v1
	ds_bpermute_b32 v23, v26, v27
	v_dual_add_f32 v4, v28, v29 :: v_dual_bitop2_b32 v46, 1, v0 bitop3:0x40
	v_dual_add_f32 v28, v6, v7 :: v_dual_bitop2_b32 v47, 2, v48 bitop3:0x14
	v_pk_add_f32 v[14:15], v[6:7], v[6:7] op_sel_hi:[0,1] neg_lo:[0,1] neg_hi:[0,1]
	v_pk_add_f32 v[30:31], v[34:35], v[30:31] neg_lo:[0,1] neg_hi:[0,1]
	s_delay_alu instid0(VALU_DEP_4) | instskip(SKIP_4) | instid1(VALU_DEP_3)
	v_cmp_eq_u32_e64 s4, 0, v46
	v_pk_add_f32 v[34:35], v[40:41], v[38:39] neg_lo:[0,1] neg_hi:[0,1]
	v_cmp_gt_i32_e64 s1, 32, v47
	v_pk_add_f32 v[6:7], v[20:21], v[20:21] op_sel_hi:[0,1] neg_lo:[0,1] neg_hi:[0,1]
	v_dual_mov_b32 v29, v15 :: v_dual_add_f32 v14, v20, v21
	v_dual_cndmask_b32 v20, -v1, v1, s4 :: v_dual_cndmask_b32 v6, v48, v47, s1
	v_dual_cndmask_b32 v21, -v27, v27, s4 :: v_dual_sub_f32 v27, v30, v34
	v_sub_f32_e32 v47, v31, v35
	v_pk_add_f32 v[40:41], v[8:9], v[8:9] op_sel_hi:[0,1] neg_lo:[0,1] neg_hi:[0,1]
	s_delay_alu instid0(VALU_DEP_4)
	v_lshlrev_b32_e32 v1, 2, v6
	s_wait_dscnt 0x0
	v_pk_add_f32 v[20:21], v[20:21], v[22:23]
	v_pk_add_f32 v[22:23], v[24:25], v[24:25] op_sel_hi:[0,1] neg_lo:[0,1] neg_hi:[0,1]
	ds_bpermute_b32 v38, v26, v27
	ds_bpermute_b32 v39, v26, v47
	v_dual_mov_b32 v15, v7 :: v_dual_add_f32 v6, v24, v25
	v_dual_mov_b32 v7, v23 :: v_dual_bitop2_b32 v22, 2, v0 bitop3:0x40
	v_dual_add_f32 v40, v8, v9 :: v_dual_bitop2_b32 v23, 4, v48 bitop3:0x14
	ds_bpermute_b32 v24, v1, v20
	ds_bpermute_b32 v25, v1, v21
	v_cmp_eq_u32_e64 s5, 0, v22
	v_pk_add_f32 v[8:9], v[18:19], v[18:19] op_sel_hi:[0,1] neg_lo:[0,1] neg_hi:[0,1]
	v_cmp_gt_i32_e64 s1, 32, v23
	v_add_f32_e32 v46, v18, v19
	v_pk_add_f32 v[42:43], v[44:45], v[42:43]
	v_dual_cndmask_b32 v20, -v20, v20, s5 :: v_dual_cndmask_b32 v21, -v21, v21, s5
	s_delay_alu instid0(VALU_DEP_4) | instskip(SKIP_2) | instid1(VALU_DEP_3)
	v_cndmask_b32_e64 v8, v48, v23, s1
	v_dual_cndmask_b32 v23, -v47, v47, s4 :: v_dual_mov_b32 v47, v9
	v_dual_cndmask_b32 v22, -v27, v27, s4 :: v_dual_bitop2_b32 v44, 16, v48 bitop3:0x14
	v_dual_lshlrev_b32 v18, 2, v8 :: v_dual_add_f32 v8, v16, v17
	v_pk_add_f32 v[16:17], v[16:17], v[16:17] op_sel_hi:[0,1] neg_lo:[0,1] neg_hi:[0,1]
	s_wait_dscnt 0x2
	s_delay_alu instid0(VALU_DEP_3)
	v_pk_add_f32 v[22:23], v[22:23], v[38:39]
	v_and_b32_e32 v16, 4, v0
	v_xor_b32_e32 v27, 8, v48
	v_dual_mov_b32 v9, v17 :: v_dual_bitop2_b32 v19, 8, v0 bitop3:0x40
	s_wait_dscnt 0x0
	v_pk_add_f32 v[20:21], v[20:21], v[24:25]
	ds_bpermute_b32 v38, v1, v22
	ds_bpermute_b32 v39, v1, v23
	v_cmp_eq_u32_e64 s1, 0, v16
	v_dual_cndmask_b32 v17, -v23, v23, s5 :: v_dual_cndmask_b32 v16, -v22, v22, s5
	v_pk_add_f32 v[22:23], v[34:35], v[30:31]
	ds_bpermute_b32 v30, v26, v42
	ds_bpermute_b32 v31, v26, v43
	v_cmp_gt_i32_e64 s6, 32, v27
	ds_bpermute_b32 v24, v18, v20
	ds_bpermute_b32 v34, v26, v22
	;; [unrolled: 1-line block ×4, first 2 shown]
	v_cndmask_b32_e64 v27, v48, v27, s6
	v_cmp_gt_i32_e64 s7, 32, v44
	v_dual_cndmask_b32 v21, -v21, v21, s1 :: v_dual_cndmask_b32 v20, -v20, v20, s1
	v_cmp_eq_u32_e64 s6, 0, v19
	s_delay_alu instid0(VALU_DEP_4) | instskip(NEXT) | instid1(VALU_DEP_4)
	v_dual_lshlrev_b32 v19, 2, v27 :: v_dual_bitop2_b32 v27, 16, v0 bitop3:0x40
	v_cndmask_b32_e64 v44, v48, v44, s7
	s_wait_dscnt 0x6
	v_pk_add_f32 v[16:17], v[16:17], v[38:39]
	v_dual_cndmask_b32 v39, -v43, v43, s4 :: v_dual_cndmask_b32 v38, -v42, v42, s4
	v_dual_cndmask_b32 v23, -v23, v23, s4 :: v_dual_cndmask_b32 v22, -v22, v22, s4
	v_dual_lshrrev_b32 v42, 5, v0 :: v_dual_bitop2_b32 v45, 7, v0 bitop3:0x40
	s_wait_dscnt 0x4
	s_delay_alu instid0(VALU_DEP_3)
	v_pk_add_f32 v[30:31], v[38:39], v[30:31]
	v_lshlrev_b32_e32 v53, 2, v44
	v_pk_add_f32 v[54:55], v[40:41], v[28:29]
	s_wait_dscnt 0x1
	v_pk_add_f32 v[34:35], v[22:23], v[34:35]
	v_dual_lshrrev_b32 v23, 3, v0 :: v_dual_bitop2_b32 v22, v42, v0 bitop3:0x14
	ds_bpermute_b32 v38, v1, v30
	ds_bpermute_b32 v39, v1, v31
	;; [unrolled: 1-line block ×4, first 2 shown]
	s_wait_dscnt 0x4
	v_pk_add_f32 v[20:21], v[20:21], v[24:25]
	ds_bpermute_b32 v24, v18, v16
	ds_bpermute_b32 v25, v18, v17
	v_dual_cndmask_b32 v31, -v31, v31, s5 :: v_dual_cndmask_b32 v30, -v30, v30, s5
	v_dual_cndmask_b32 v35, -v35, v35, s5 :: v_dual_cndmask_b32 v34, -v34, v34, s5
	v_lshlrev_b32_e32 v48, 5, v45
	v_dual_cndmask_b32 v17, -v17, v17, s1 :: v_dual_cndmask_b32 v16, -v16, v16, s1
	v_pk_add_f32 v[28:29], v[28:29], v[40:41] neg_lo:[0,1] neg_hi:[0,1]
	v_cmp_eq_u32_e64 s7, 0, v27
	s_delay_alu instid0(VALU_DEP_4)
	v_bitop3_b32 v23, v48, v45, v23 bitop3:0x36
	v_pk_add_f32 v[48:49], v[32:33], v[36:37]
	v_pk_add_f32 v[32:33], v[36:37], v[32:33] neg_lo:[0,1] neg_hi:[0,1]
	v_lshl_add_u32 v22, v22, 4, 0
	s_wait_dscnt 0x0
	v_pk_add_f32 v[30:31], v[30:31], v[38:39]
	v_dual_sub_f32 v56, v48, v54 :: v_dual_sub_f32 v57, v49, v55
	v_pk_add_f32 v[34:35], v[34:35], v[42:43]
	v_dual_sub_f32 v58, v32, v28 :: v_dual_sub_f32 v59, v33, v29
	v_pk_add_f32 v[16:17], v[16:17], v[24:25]
	ds_bpermute_b32 v24, v19, v20
	ds_bpermute_b32 v25, v19, v21
	;; [unrolled: 1-line block ×12, first 2 shown]
	v_dual_cndmask_b32 v21, -v21, v21, s6 :: v_dual_cndmask_b32 v20, -v20, v20, s6
	v_dual_cndmask_b32 v31, -v31, v31, s1 :: v_dual_cndmask_b32 v30, -v30, v30, s1
	v_dual_cndmask_b32 v35, -v35, v35, s1 :: v_dual_cndmask_b32 v34, -v34, v34, s1
	v_dual_cndmask_b32 v17, -v17, v17, s6 :: v_dual_cndmask_b32 v16, -v16, v16, s6
	v_pk_add_f32 v[48:49], v[54:55], v[48:49]
	s_wait_dscnt 0xa
	v_pk_add_f32 v[20:21], v[20:21], v[24:25]
	v_pk_add_f32 v[32:33], v[28:29], v[32:33]
	s_wait_dscnt 0x8
	v_pk_add_f32 v[24:25], v[30:31], v[38:39]
	s_barrier_signal -1
	s_wait_dscnt 0x6
	v_pk_add_f32 v[30:31], v[34:35], v[42:43]
	ds_bpermute_b32 v35, v53, v21
	s_wait_dscnt 0x5
	v_pk_add_f32 v[16:17], v[16:17], v[44:45]
	v_dual_cndmask_b32 v45, -v57, v57, s4 :: v_dual_cndmask_b32 v44, -v56, v56, s4
	ds_bpermute_b32 v42, v19, v30
	v_dual_cndmask_b32 v57, -v59, v59, s4 :: v_dual_cndmask_b32 v56, -v58, v58, s4
	ds_bpermute_b32 v43, v19, v31
	ds_bpermute_b32 v38, v19, v24
	;; [unrolled: 1-line block ×3, first 2 shown]
	s_wait_dscnt 0x7
	v_pk_add_f32 v[36:37], v[44:45], v[36:37]
	s_wait_dscnt 0x5
	v_pk_add_f32 v[40:41], v[56:57], v[40:41]
	v_dual_cndmask_b32 v21, -v21, v21, s7 :: v_dual_cndmask_b32 v31, -v31, v31, s6
	v_dual_cndmask_b32 v30, -v30, v30, s6 :: v_dual_cndmask_b32 v25, -v25, v25, s6
	ds_bpermute_b32 v56, v1, v36
	ds_bpermute_b32 v57, v1, v37
	ds_bpermute_b32 v58, v1, v40
	ds_bpermute_b32 v59, v1, v41
	v_cndmask_b32_e64 v24, -v24, v24, s6
	ds_bpermute_b32 v34, v53, v20
	ds_bpermute_b32 v44, v53, v16
	;; [unrolled: 1-line block ×3, first 2 shown]
	v_dual_cndmask_b32 v20, -v20, v20, s7 :: v_dual_cndmask_b32 v37, -v37, v37, s5
	v_cndmask_b32_e64 v17, -v17, v17, s7
	s_wait_dscnt 0x9
	v_pk_add_f32 v[30:31], v[30:31], v[42:43]
	v_cndmask_b32_e64 v16, -v16, v16, s7
	s_wait_dscnt 0x7
	v_pk_add_f32 v[24:25], v[24:25], v[38:39]
	v_dual_cndmask_b32 v36, -v36, v36, s5 :: v_dual_cndmask_b32 v39, -v41, v41, s5
	v_dual_cndmask_b32 v38, -v40, v40, s5 :: v_dual_cndmask_b32 v62, -v30, v30, s7
	ds_bpermute_b32 v42, v53, v30
	ds_bpermute_b32 v43, v53, v31
	;; [unrolled: 1-line block ×5, first 2 shown]
	s_wait_dscnt 0x8
	v_pk_add_f32 v[38:39], v[38:39], v[58:59]
	ds_bpermute_b32 v58, v26, v48
	ds_bpermute_b32 v59, v26, v49
	;; [unrolled: 1-line block ×3, first 2 shown]
	v_cndmask_b32_e64 v63, -v31, v31, s7
	v_pk_add_f32 v[36:37], v[36:37], v[56:57]
	s_wait_dscnt 0x8
	v_pk_add_f32 v[30:31], v[16:17], v[44:45]
	v_pk_add_f32 v[28:29], v[20:21], v[34:35]
	v_dual_cndmask_b32 v17, -v25, v25, s7 :: v_dual_cndmask_b32 v16, -v24, v24, s7
	ds_bpermute_b32 v54, v18, v36
	ds_bpermute_b32 v55, v18, v37
	v_dual_cndmask_b32 v45, -v33, v33, s4 :: v_dual_cndmask_b32 v44, -v32, v32, s4
	v_dual_cndmask_b32 v21, -v37, v37, s1 :: v_dual_cndmask_b32 v25, -v39, v39, s1
	s_wait_dscnt 0x8
	v_pk_add_f32 v[34:35], v[62:63], v[42:43]
	v_dual_cndmask_b32 v43, -v49, v49, s4 :: v_dual_cndmask_b32 v42, -v48, v48, s4
	v_dual_cndmask_b32 v24, -v38, v38, s1 :: v_dual_cndmask_b32 v20, -v36, v36, s1
	s_wait_dscnt 0x6
	v_pk_add_f32 v[32:33], v[16:17], v[40:41]
	ds_bpermute_b32 v56, v18, v38
	s_wait_dscnt 0x4
	v_pk_add_f32 v[36:37], v[42:43], v[58:59]
	s_wait_dscnt 0x3
	v_pk_add_f32 v[16:17], v[44:45], v[60:61]
	v_pk_add_f32 v[42:43], v[12:13], v[10:11]
	v_pk_add_f32 v[44:45], v[46:47], v[14:15]
	v_pk_add_f32 v[10:11], v[10:11], v[12:13] neg_lo:[0,1] neg_hi:[0,1]
	v_pk_add_f32 v[12:13], v[14:15], v[46:47] neg_lo:[0,1] neg_hi:[0,1]
	ds_bpermute_b32 v57, v18, v39
	ds_bpermute_b32 v38, v1, v36
	s_wait_dscnt 0x3
	v_pk_add_f32 v[20:21], v[20:21], v[54:55]
	v_dual_sub_f32 v27, v42, v44 :: v_dual_sub_f32 v54, v43, v45
	v_dual_sub_f32 v58, v11, v13 :: v_dual_sub_f32 v60, v10, v12
	ds_bpermute_b32 v39, v1, v37
	ds_bpermute_b32 v46, v26, v27
	;; [unrolled: 1-line block ×8, first 2 shown]
	v_dual_cndmask_b32 v21, -v21, v21, s6 :: v_dual_cndmask_b32 v55, -v54, v54, s4
	v_dual_cndmask_b32 v54, -v27, v27, s4 :: v_dual_cndmask_b32 v59, -v58, v58, s4
	ds_bpermute_b32 v14, v19, v20
	s_wait_dscnt 0xa
	v_pk_add_f32 v[24:25], v[24:25], v[56:57]
	v_dual_cndmask_b32 v37, -v37, v37, s5 :: v_dual_cndmask_b32 v36, -v36, v36, s5
	v_dual_cndmask_b32 v58, -v60, v60, s4 :: v_dual_cndmask_b32 v17, -v17, v17, s5
	v_cndmask_b32_e64 v16, -v16, v16, s5
	s_barrier_wait -1
	s_wait_dscnt 0x8
	v_pk_add_f32 v[36:37], v[36:37], v[38:39]
	ds_bpermute_b32 v38, v19, v24
	s_wait_dscnt 0x7
	v_pk_add_f32 v[46:47], v[54:55], v[46:47]
	ds_bpermute_b32 v39, v19, v25
	v_cndmask_b32_e64 v25, -v25, v25, s6
	s_wait_dscnt 0x6
	v_pk_add_f32 v[48:49], v[58:59], v[48:49]
	s_wait_dscnt 0x4
	v_pk_add_f32 v[16:17], v[16:17], v[40:41]
	ds_bpermute_b32 v54, v1, v46
	ds_bpermute_b32 v55, v1, v47
	v_cndmask_b32_e64 v20, -v20, v20, s6
	ds_bpermute_b32 v58, v1, v48
	ds_bpermute_b32 v59, v1, v49
	s_wait_dscnt 0x0
	ds_bpermute_b32 v40, v18, v36
	ds_bpermute_b32 v41, v18, v37
	;; [unrolled: 1-line block ×3, first 2 shown]
	v_pk_add_f32 v[14:15], v[20:21], v[14:15]
	v_cndmask_b32_e64 v16, -v16, v16, s1
	v_cndmask_b32_e64 v20, -v36, v36, s1
	ds_store_b128 v22, v[32:35]
	ds_store_b128 v22, v[28:31] offset:4096
	v_dual_cndmask_b32 v31, -v47, v47, s5 :: v_dual_cndmask_b32 v30, -v46, v46, s5
	v_cndmask_b32_e64 v24, -v24, v24, s6
	ds_bpermute_b32 v57, v18, v17
	v_cndmask_b32_e64 v17, -v17, v17, s1
	v_dual_cndmask_b32 v35, -v49, v49, s5 :: v_dual_cndmask_b32 v34, -v48, v48, s5
	v_pk_add_f32 v[24:25], v[24:25], v[38:39]
	v_pk_add_f32 v[30:31], v[30:31], v[54:55]
	v_cndmask_b32_e64 v21, -v37, v37, s1
	ds_bpermute_b32 v28, v53, v14
	v_pk_add_f32 v[34:35], v[34:35], v[58:59]
	ds_bpermute_b32 v29, v53, v15
	ds_bpermute_b32 v38, v18, v30
	;; [unrolled: 1-line block ×3, first 2 shown]
	s_wait_dscnt 0x8
	v_pk_add_f32 v[20:21], v[20:21], v[40:41]
	ds_bpermute_b32 v46, v18, v34
	ds_bpermute_b32 v47, v18, v35
	v_pk_add_f32 v[42:43], v[44:45], v[42:43]
	v_dual_cndmask_b32 v31, -v31, v31, s1 :: v_dual_cndmask_b32 v30, -v30, v30, s1
	ds_bpermute_b32 v36, v19, v20
	ds_bpermute_b32 v37, v19, v21
	;; [unrolled: 1-line block ×4, first 2 shown]
	s_wait_dscnt 0xa
	v_pk_add_f32 v[16:17], v[16:17], v[56:57]
	ds_bpermute_b32 v40, v53, v24
	ds_bpermute_b32 v41, v53, v25
	v_dual_cndmask_b32 v15, -v15, v15, s7 :: v_dual_cndmask_b32 v14, -v14, v14, s7
	ds_bpermute_b32 v32, v19, v16
	v_dual_cndmask_b32 v16, -v16, v16, s6 :: v_dual_cndmask_b32 v35, -v35, v35, s1
	v_cndmask_b32_e64 v34, -v34, v34, s1
	s_wait_dscnt 0x9
	v_pk_add_f32 v[30:31], v[30:31], v[38:39]
	ds_bpermute_b32 v33, v19, v17
	v_cndmask_b32_e64 v17, -v17, v17, s6
	v_dual_cndmask_b32 v25, -v25, v25, s7 :: v_dual_cndmask_b32 v20, -v20, v20, s6
	ds_bpermute_b32 v38, v19, v30
	ds_bpermute_b32 v39, v19, v31
	v_dual_cndmask_b32 v21, -v21, v21, s6 :: v_dual_cndmask_b32 v24, -v24, v24, s7
	s_wait_dscnt 0xa
	v_pk_add_f32 v[34:35], v[34:35], v[46:47]
	v_pk_add_f32 v[44:45], v[12:13], v[10:11]
	;; [unrolled: 1-line block ×3, first 2 shown]
	v_dual_cndmask_b32 v29, -v43, v43, s4 :: v_dual_cndmask_b32 v28, -v42, v42, s4
	s_wait_dscnt 0x8
	v_pk_add_f32 v[20:21], v[20:21], v[36:37]
	ds_bpermute_b32 v46, v19, v34
	ds_bpermute_b32 v47, v19, v35
	;; [unrolled: 1-line block ×4, first 2 shown]
	s_wait_dscnt 0xa
	v_pk_add_f32 v[28:29], v[28:29], v[48:49]
	ds_bpermute_b32 v36, v53, v20
	ds_bpermute_b32 v37, v53, v21
	s_wait_dscnt 0xa
	v_pk_add_f32 v[12:13], v[24:25], v[40:41]
	v_dual_cndmask_b32 v15, -v21, v21, s7 :: v_dual_cndmask_b32 v14, -v20, v20, s7
	v_dual_cndmask_b32 v21, -v31, v31, s6 :: v_dual_cndmask_b32 v20, -v30, v30, s6
	;; [unrolled: 1-line block ×3, first 2 shown]
	ds_bpermute_b32 v34, v1, v28
	ds_bpermute_b32 v35, v1, v29
	s_wait_dscnt 0x8
	v_pk_add_f32 v[20:21], v[20:21], v[38:39]
	v_pk_add_f32 v[38:39], v[4:5], v[2:3]
	;; [unrolled: 1-line block ×3, first 2 shown]
	v_dual_cndmask_b32 v31, -v45, v45, s4 :: v_dual_cndmask_b32 v30, -v44, v44, s4
	v_pk_add_f32 v[2:3], v[2:3], v[4:5] neg_lo:[0,1] neg_hi:[0,1]
	v_pk_add_f32 v[4:5], v[6:7], v[8:9] neg_lo:[0,1] neg_hi:[0,1]
	s_delay_alu instid0(VALU_DEP_4)
	v_dual_cndmask_b32 v7, -v29, v29, s5 :: v_dual_sub_f32 v27, v38, v40
	v_sub_f32_e32 v44, v39, v41
	s_wait_dscnt 0x6
	v_pk_add_f32 v[24:25], v[24:25], v[46:47]
	s_wait_dscnt 0x4
	v_pk_add_f32 v[30:31], v[30:31], v[54:55]
	v_dual_sub_f32 v45, v2, v4 :: v_dual_sub_f32 v46, v3, v5
	v_cndmask_b32_e64 v6, -v28, v28, s5
	ds_bpermute_b32 v8, v26, v27
	ds_bpermute_b32 v9, v26, v44
	v_pk_add_f32 v[38:39], v[40:41], v[38:39]
	v_pk_add_f32 v[2:3], v[4:5], v[2:3]
	s_wait_dscnt 0x4
	v_pk_add_f32 v[14:15], v[14:15], v[36:37]
	ds_bpermute_b32 v36, v1, v30
	ds_bpermute_b32 v37, v1, v31
	;; [unrolled: 1-line block ×4, first 2 shown]
	s_wait_dscnt 0x6
	v_pk_add_f32 v[6:7], v[6:7], v[34:35]
	v_dual_cndmask_b32 v35, -v44, v44, s4 :: v_dual_cndmask_b32 v34, -v27, v27, s4
	v_dual_cndmask_b32 v5, -v46, v46, s4 :: v_dual_cndmask_b32 v4, -v45, v45, s4
	ds_bpermute_b32 v40, v26, v38
	ds_bpermute_b32 v41, v26, v39
	;; [unrolled: 1-line block ×4, first 2 shown]
	v_pk_add_f32 v[16:17], v[16:17], v[32:33]
	v_dual_cndmask_b32 v31, -v31, v31, s5 :: v_dual_cndmask_b32 v30, -v30, v30, s5
	s_wait_dscnt 0x8
	v_pk_add_f32 v[8:9], v[34:35], v[8:9]
	v_dual_cndmask_b32 v39, -v39, v39, s4 :: v_dual_cndmask_b32 v38, -v38, v38, s4
	ds_bpermute_b32 v32, v53, v16
	ds_bpermute_b32 v33, v53, v17
	v_dual_cndmask_b32 v3, -v3, v3, s4 :: v_dual_cndmask_b32 v2, -v2, v2, s4
	s_wait_dscnt 0x8
	v_pk_add_f32 v[30:31], v[30:31], v[36:37]
	ds_bpermute_b32 v36, v18, v6
	ds_bpermute_b32 v37, v18, v7
	s_wait_dscnt 0x8
	v_pk_add_f32 v[4:5], v[4:5], v[28:29]
	ds_bpermute_b32 v34, v1, v8
	ds_bpermute_b32 v35, v1, v9
	;; [unrolled: 1-line block ×3, first 2 shown]
	s_wait_dscnt 0x9
	v_pk_add_f32 v[38:39], v[38:39], v[40:41]
	ds_bpermute_b32 v29, v18, v31
	s_wait_dscnt 0x8
	v_pk_add_f32 v[2:3], v[2:3], v[44:45]
	ds_bpermute_b32 v46, v1, v4
	ds_bpermute_b32 v47, v1, v5
	ds_bpermute_b32 v40, v1, v38
	ds_bpermute_b32 v41, v1, v39
	ds_bpermute_b32 v44, v1, v2
	ds_bpermute_b32 v45, v1, v3
	v_dual_cndmask_b32 v17, -v17, v17, s7 :: v_dual_cndmask_b32 v16, -v16, v16, s7
	v_dual_cndmask_b32 v7, -v7, v7, s1 :: v_dual_cndmask_b32 v9, -v9, v9, s5
	;; [unrolled: 1-line block ×3, first 2 shown]
	s_wait_dscnt 0xc
	s_delay_alu instid0(VALU_DEP_3)
	v_pk_add_f32 v[16:17], v[16:17], v[32:33]
	ds_bpermute_b32 v33, v53, v21
	v_cndmask_b32_e64 v21, -v21, v21, s7
	ds_bpermute_b32 v32, v53, v20
	v_dual_cndmask_b32 v5, -v5, v5, s5 :: v_dual_cndmask_b32 v4, -v4, v4, s5
	v_dual_cndmask_b32 v31, -v31, v31, s1 :: v_dual_cndmask_b32 v30, -v30, v30, s1
	s_wait_dscnt 0xa
	v_pk_add_f32 v[8:9], v[8:9], v[34:35]
	v_cndmask_b32_e64 v20, -v20, v20, s7
	v_pk_add_f32 v[6:7], v[6:7], v[36:37]
	v_dual_cndmask_b32 v37, -v39, v39, s5 :: v_dual_cndmask_b32 v36, -v38, v38, s5
	v_dual_cndmask_b32 v3, -v3, v3, s5 :: v_dual_cndmask_b32 v2, -v2, v2, s5
	s_wait_dscnt 0x6
	v_pk_add_f32 v[4:5], v[4:5], v[46:47]
	v_pk_add_f32 v[28:29], v[30:31], v[28:29]
	ds_bpermute_b32 v30, v18, v8
	ds_bpermute_b32 v31, v18, v9
	s_wait_dscnt 0x6
	v_pk_add_f32 v[36:37], v[36:37], v[40:41]
	s_wait_dscnt 0x4
	v_pk_add_f32 v[2:3], v[2:3], v[44:45]
	ds_bpermute_b32 v34, v18, v4
	ds_bpermute_b32 v35, v18, v5
	;; [unrolled: 1-line block ×8, first 2 shown]
	v_dual_cndmask_b32 v7, -v7, v7, s6 :: v_dual_cndmask_b32 v9, -v9, v9, s1
	v_dual_cndmask_b32 v8, -v8, v8, s1 :: v_dual_cndmask_b32 v6, -v6, v6, s6
	;; [unrolled: 1-line block ×4, first 2 shown]
	ds_bpermute_b32 v40, v19, v28
	s_wait_dscnt 0x9
	v_pk_add_f32 v[8:9], v[8:9], v[30:31]
	v_dual_cndmask_b32 v31, -v37, v37, s1 :: v_dual_cndmask_b32 v30, -v36, v36, s1
	ds_bpermute_b32 v41, v19, v29
	s_wait_dscnt 0x8
	v_pk_add_f32 v[4:5], v[4:5], v[34:35]
	ds_bpermute_b32 v34, v19, v8
	ds_bpermute_b32 v35, v19, v9
	s_wait_dscnt 0x7
	v_pk_add_f32 v[30:31], v[30:31], v[44:45]
	v_dual_cndmask_b32 v9, -v9, v9, s6 :: v_dual_cndmask_b32 v8, -v8, v8, s6
	s_wait_dscnt 0x5
	v_pk_add_f32 v[2:3], v[2:3], v[46:47]
	s_wait_dscnt 0x4
	v_pk_add_f32 v[6:7], v[6:7], v[38:39]
	ds_bpermute_b32 v38, v19, v30
	ds_bpermute_b32 v39, v19, v31
	;; [unrolled: 1-line block ×6, first 2 shown]
	v_dual_cndmask_b32 v29, -v29, v29, s6 :: v_dual_cndmask_b32 v28, -v28, v28, s6
	v_dual_cndmask_b32 v3, -v3, v3, s6 :: v_dual_cndmask_b32 v2, -v2, v2, s6
	;; [unrolled: 1-line block ×3, first 2 shown]
	s_wait_dscnt 0x8
	s_delay_alu instid0(VALU_DEP_3)
	v_pk_add_f32 v[28:29], v[28:29], v[40:41]
	ds_bpermute_b32 v42, v53, v24
	s_wait_dscnt 0x7
	v_pk_add_f32 v[34:35], v[8:9], v[34:35]
	v_dual_cndmask_b32 v9, -v31, v31, s6 :: v_dual_cndmask_b32 v8, -v30, v30, s6
	ds_bpermute_b32 v43, v53, v25
	ds_bpermute_b32 v40, v53, v6
	;; [unrolled: 1-line block ×4, first 2 shown]
	s_wait_dscnt 0x9
	v_pk_add_f32 v[38:39], v[8:9], v[38:39]
	ds_bpermute_b32 v41, v53, v7
	v_dual_cndmask_b32 v25, -v25, v25, s7 :: v_dual_cndmask_b32 v24, -v24, v24, s7
	s_wait_dscnt 0x7
	v_pk_add_f32 v[44:45], v[2:3], v[44:45]
	s_wait_dscnt 0x6
	v_pk_add_f32 v[30:31], v[4:5], v[36:37]
	ds_bpermute_b32 v54, v53, v38
	ds_bpermute_b32 v55, v53, v39
	;; [unrolled: 1-line block ×8, first 2 shown]
	v_dual_cndmask_b32 v9, -v29, v29, s7 :: v_dual_cndmask_b32 v8, -v28, v28, s7
	v_dual_cndmask_b32 v7, -v7, v7, s7 :: v_dual_cndmask_b32 v6, -v6, v6, s7
	v_pk_add_f32 v[2:3], v[20:21], v[32:33]
	v_dual_cndmask_b32 v21, -v35, v35, s7 :: v_dual_cndmask_b32 v20, -v34, v34, s7
	v_dual_cndmask_b32 v33, -v39, v39, s7 :: v_dual_cndmask_b32 v35, -v45, v45, s7
	;; [unrolled: 1-line block ×3, first 2 shown]
	s_wait_dscnt 0xc
	v_pk_add_f32 v[4:5], v[24:25], v[42:43]
	v_dual_cndmask_b32 v25, -v31, v31, s7 :: v_dual_cndmask_b32 v24, -v30, v30, s7
	v_lshl_add_u32 v23, v23, 4, 0
	s_wait_dscnt 0x9
	v_pk_add_f32 v[8:9], v[8:9], v[46:47]
	s_wait_dscnt 0x8
	v_pk_add_f32 v[6:7], v[6:7], v[40:41]
	;; [unrolled: 2-line block ×3, first 2 shown]
	v_pk_add_f32 v[32:33], v[32:33], v[54:55]
	s_wait_dscnt 0x0
	v_pk_add_f32 v[30:31], v[24:25], v[48:49]
	v_pk_add_f32 v[28:29], v[20:21], v[36:37]
	ds_store_b128 v22, v[14:17] offset:8192
	ds_store_b128 v22, v[10:13] offset:12288
	;; [unrolled: 1-line block ×6, first 2 shown]
	s_wait_dscnt 0x0
	s_barrier_signal -1
	s_barrier_wait -1
	ds_load_b128 v[2:5], v23
	ds_load_b128 v[6:9], v23 offset:4096
	s_wait_kmcnt 0x0
	s_mov_b32 s9, s8
	s_wait_dscnt 0x1
	ds_bpermute_b32 v10, v26, v2
	ds_bpermute_b32 v11, v26, v3
	;; [unrolled: 1-line block ×4, first 2 shown]
	v_dual_cndmask_b32 v3, -v3, v3, s4 :: v_dual_cndmask_b32 v2, -v2, v2, s4
	v_dual_cndmask_b32 v5, -v5, v5, s4 :: v_dual_cndmask_b32 v4, -v4, v4, s4
	s_wait_dscnt 0x4
	ds_bpermute_b32 v16, v26, v8
	ds_bpermute_b32 v17, v26, v9
	ds_bpermute_b32 v24, v26, v6
	ds_bpermute_b32 v25, v26, v7
	v_dual_cndmask_b32 v9, -v9, v9, s4 :: v_dual_cndmask_b32 v8, -v8, v8, s4
	v_dual_cndmask_b32 v7, -v7, v7, s4 :: v_dual_cndmask_b32 v6, -v6, v6, s4
	s_wait_dscnt 0x6
	v_pk_add_f32 v[10:11], v[2:3], v[10:11]
	s_wait_dscnt 0x4
	v_pk_add_f32 v[12:13], v[4:5], v[12:13]
	ds_load_b128 v[2:5], v23 offset:8192
	ds_bpermute_b32 v14, v1, v10
	ds_bpermute_b32 v15, v1, v11
	;; [unrolled: 1-line block ×4, first 2 shown]
	v_dual_cndmask_b32 v11, -v11, v11, s5 :: v_dual_cndmask_b32 v10, -v10, v10, s5
	v_dual_cndmask_b32 v13, -v13, v13, s5 :: v_dual_cndmask_b32 v12, -v12, v12, s5
	s_wait_dscnt 0x7
	v_pk_add_f32 v[16:17], v[8:9], v[16:17]
	s_wait_dscnt 0x2
	v_pk_add_f32 v[10:11], v[10:11], v[14:15]
	v_pk_add_f32 v[14:15], v[6:7], v[24:25]
	s_wait_dscnt 0x0
	v_pk_add_f32 v[12:13], v[12:13], v[20:21]
	ds_bpermute_b32 v20, v1, v16
	ds_bpermute_b32 v21, v1, v17
	ds_load_b128 v[6:9], v23 offset:12288
	ds_bpermute_b32 v30, v1, v14
	ds_bpermute_b32 v31, v1, v15
	;; [unrolled: 1-line block ×10, first 2 shown]
	v_dual_cndmask_b32 v17, -v17, v17, s5 :: v_dual_cndmask_b32 v16, -v16, v16, s5
	v_dual_cndmask_b32 v15, -v15, v15, s5 :: v_dual_cndmask_b32 v14, -v14, v14, s5
	;; [unrolled: 1-line block ×4, first 2 shown]
	s_wait_dscnt 0xb
	v_pk_add_f32 v[16:17], v[16:17], v[20:21]
	v_dual_cndmask_b32 v5, -v5, v5, s4 :: v_dual_cndmask_b32 v4, -v4, v4, s4
	s_wait_dscnt 0x8
	v_pk_add_f32 v[14:15], v[14:15], v[30:31]
	ds_bpermute_b32 v38, v26, v6
	ds_bpermute_b32 v20, v18, v16
	;; [unrolled: 1-line block ×3, first 2 shown]
	s_wait_dscnt 0x8
	v_pk_add_f32 v[30:31], v[2:3], v[32:33]
	s_wait_dscnt 0x6
	v_pk_add_f32 v[32:33], v[4:5], v[34:35]
	;; [unrolled: 2-line block ×3, first 2 shown]
	ds_bpermute_b32 v28, v18, v14
	ds_bpermute_b32 v29, v18, v15
	;; [unrolled: 1-line block ×5, first 2 shown]
	v_dual_cndmask_b32 v11, -v11, v11, s1 :: v_dual_cndmask_b32 v10, -v10, v10, s1
	ds_bpermute_b32 v34, v1, v30
	ds_bpermute_b32 v35, v1, v31
	;; [unrolled: 1-line block ×4, first 2 shown]
	s_wait_dscnt 0xc
	v_pk_add_f32 v[2:3], v[10:11], v[24:25]
	ds_load_b128 v[10:13], v23 offset:16384
	v_dual_cndmask_b32 v17, -v17, v17, s1 :: v_dual_cndmask_b32 v16, -v16, v16, s1
	v_dual_cndmask_b32 v15, -v15, v15, s1 :: v_dual_cndmask_b32 v14, -v14, v14, s1
	;; [unrolled: 1-line block ×4, first 2 shown]
	s_wait_dscnt 0xa
	v_pk_add_f32 v[16:17], v[16:17], v[20:21]
	v_dual_cndmask_b32 v21, -v31, v31, s5 :: v_dual_cndmask_b32 v25, -v33, v33, s5
	v_dual_cndmask_b32 v24, -v32, v32, s5 :: v_dual_cndmask_b32 v20, -v30, v30, s5
	s_wait_dscnt 0x7
	v_pk_add_f32 v[30:31], v[6:7], v[38:39]
	v_pk_add_f32 v[14:15], v[14:15], v[28:29]
	s_wait_dscnt 0x5
	v_pk_add_f32 v[28:29], v[8:9], v[40:41]
	ds_load_b128 v[6:9], v23 offset:20480
	s_wait_dscnt 0x4
	v_pk_add_f32 v[20:21], v[20:21], v[34:35]
	ds_bpermute_b32 v32, v1, v30
	ds_bpermute_b32 v33, v1, v31
	ds_bpermute_b32 v34, v1, v28
	ds_bpermute_b32 v35, v1, v29
	s_wait_dscnt 0x6
	v_pk_add_f32 v[24:25], v[24:25], v[36:37]
	s_wait_dscnt 0x5
	ds_bpermute_b32 v36, v26, v10
	ds_bpermute_b32 v37, v26, v11
	;; [unrolled: 1-line block ×5, first 2 shown]
	v_dual_cndmask_b32 v25, -v25, v25, s1 :: v_dual_cndmask_b32 v31, -v31, v31, s5
	v_dual_cndmask_b32 v30, -v30, v30, s5 :: v_dual_cndmask_b32 v29, -v29, v29, s5
	;; [unrolled: 1-line block ×3, first 2 shown]
	ds_bpermute_b32 v42, v18, v24
	v_dual_cndmask_b32 v10, -v10, v10, s4 :: v_dual_cndmask_b32 v13, -v13, v13, s4
	ds_bpermute_b32 v38, v18, v20
	ds_bpermute_b32 v39, v18, v21
	s_wait_dscnt 0xa
	v_pk_add_f32 v[30:31], v[30:31], v[32:33]
	v_cndmask_b32_e64 v12, -v12, v12, s4
	s_wait_dscnt 0x8
	v_pk_add_f32 v[32:33], v[28:29], v[34:35]
	v_dual_cndmask_b32 v21, -v21, v21, s1 :: v_dual_cndmask_b32 v24, -v24, v24, s1
	s_wait_dscnt 0x6
	v_pk_add_f32 v[10:11], v[10:11], v[36:37]
	ds_bpermute_b32 v36, v18, v30
	ds_bpermute_b32 v37, v18, v31
	s_wait_dscnt 0x6
	v_pk_add_f32 v[34:35], v[12:13], v[40:41]
	ds_bpermute_b32 v40, v18, v32
	ds_bpermute_b32 v41, v18, v33
	v_dual_cndmask_b32 v20, -v20, v20, s1 :: v_dual_cndmask_b32 v33, -v33, v33, s1
	ds_bpermute_b32 v46, v1, v34
	ds_bpermute_b32 v47, v1, v35
	s_wait_dscnt 0x8
	v_pk_add_f32 v[12:13], v[24:25], v[42:43]
	v_dual_cndmask_b32 v25, -v31, v31, s1 :: v_dual_cndmask_b32 v24, -v30, v30, s1
	v_dual_cndmask_b32 v42, -v10, v10, s5 :: v_dual_cndmask_b32 v32, -v32, v32, s1
	ds_bpermute_b32 v48, v26, v6
	ds_bpermute_b32 v49, v26, v7
	ds_load_b128 v[28:31], v23 offset:24576
	ds_bpermute_b32 v44, v1, v10
	ds_bpermute_b32 v45, v1, v11
	v_cndmask_b32_e64 v43, -v11, v11, s5
	v_dual_cndmask_b32 v57, -v35, v35, s5 :: v_dual_cndmask_b32 v56, -v34, v34, s5
	s_wait_dscnt 0xb
	v_pk_add_f32 v[10:11], v[20:21], v[38:39]
	ds_bpermute_b32 v54, v26, v8
	s_wait_dscnt 0x8
	v_pk_add_f32 v[34:35], v[32:33], v[40:41]
	v_pk_add_f32 v[32:33], v[24:25], v[36:37]
	ds_load_b128 v[36:39], v23 offset:28672
	v_dual_cndmask_b32 v7, -v7, v7, s4 :: v_dual_cndmask_b32 v8, -v8, v8, s4
	v_cndmask_b32_e64 v6, -v6, v6, s4
	ds_bpermute_b32 v55, v26, v9
	s_wait_dscnt 0x8
	v_pk_add_f32 v[24:25], v[56:57], v[46:47]
	v_cndmask_b32_e64 v9, -v9, v9, s4
	s_wait_dscnt 0x0
	s_barrier_signal -1
	v_pk_add_f32 v[6:7], v[6:7], v[48:49]
	ds_bpermute_b32 v46, v26, v30
	ds_bpermute_b32 v47, v26, v31
	v_pk_add_f32 v[20:21], v[42:43], v[44:45]
	ds_bpermute_b32 v44, v26, v28
	ds_bpermute_b32 v45, v26, v29
	;; [unrolled: 1-line block ×4, first 2 shown]
	v_dual_cndmask_b32 v31, -v31, v31, s4 :: v_dual_cndmask_b32 v30, -v30, v30, s4
	v_dual_cndmask_b32 v7, -v7, v7, s5 :: v_dual_cndmask_b32 v27, -v29, v29, s4
	ds_bpermute_b32 v56, v26, v36
	ds_bpermute_b32 v57, v26, v37
	;; [unrolled: 1-line block ×4, first 2 shown]
	v_dual_cndmask_b32 v26, -v28, v28, s4 :: v_dual_cndmask_b32 v6, -v6, v6, s5
	v_pk_add_f32 v[8:9], v[8:9], v[54:55]
	ds_bpermute_b32 v40, v18, v20
	ds_bpermute_b32 v41, v18, v21
	;; [unrolled: 1-line block ×3, first 2 shown]
	s_wait_dscnt 0xb
	v_pk_add_f32 v[28:29], v[30:31], v[46:47]
	v_dual_cndmask_b32 v31, -v37, v37, s4 :: v_dual_cndmask_b32 v30, -v36, v36, s4
	v_dual_cndmask_b32 v37, -v39, v39, s4 :: v_dual_cndmask_b32 v36, -v38, v38, s4
	s_wait_dscnt 0x9
	v_pk_add_f32 v[26:27], v[26:27], v[44:45]
	s_wait_dscnt 0x7
	v_pk_add_f32 v[44:45], v[6:7], v[48:49]
	ds_bpermute_b32 v54, v1, v8
	ds_bpermute_b32 v55, v1, v9
	v_dual_cndmask_b32 v9, -v9, v9, s5 :: v_dual_cndmask_b32 v8, -v8, v8, s5
	s_wait_dscnt 0x7
	v_pk_add_f32 v[30:31], v[30:31], v[56:57]
	ds_bpermute_b32 v38, v1, v26
	s_wait_dscnt 0x6
	v_pk_add_f32 v[6:7], v[36:37], v[58:59]
	ds_bpermute_b32 v39, v1, v27
	ds_bpermute_b32 v36, v1, v28
	;; [unrolled: 1-line block ×7, first 2 shown]
	v_dual_cndmask_b32 v27, -v27, v27, s5 :: v_dual_cndmask_b32 v26, -v26, v26, s5
	v_dual_cndmask_b32 v29, -v29, v29, s5 :: v_dual_cndmask_b32 v28, -v28, v28, s5
	;; [unrolled: 1-line block ×4, first 2 shown]
	ds_bpermute_b32 v43, v18, v25
	s_wait_dscnt 0x9
	v_pk_add_f32 v[8:9], v[8:9], v[54:55]
	ds_bpermute_b32 v54, v18, v44
	ds_bpermute_b32 v55, v18, v45
	v_dual_cndmask_b32 v21, -v21, v21, s1 :: v_dual_cndmask_b32 v20, -v20, v20, s1
	s_wait_dscnt 0x9
	v_pk_add_f32 v[26:27], v[26:27], v[38:39]
	s_wait_dscnt 0x7
	v_pk_add_f32 v[28:29], v[28:29], v[36:37]
	ds_bpermute_b32 v56, v18, v8
	s_wait_dscnt 0x6
	v_pk_add_f32 v[30:31], v[30:31], v[46:47]
	ds_bpermute_b32 v57, v18, v9
	;; [unrolled: 3-line block ×3, first 2 shown]
	ds_bpermute_b32 v37, v18, v27
	ds_bpermute_b32 v46, v18, v28
	;; [unrolled: 1-line block ×7, first 2 shown]
	v_dual_cndmask_b32 v25, -v25, v25, s1 :: v_dual_cndmask_b32 v24, -v24, v24, s1
	v_dual_cndmask_b32 v19, -v9, v9, s1 :: v_dual_cndmask_b32 v18, -v8, v8, s1
	v_pk_add_f32 v[6:7], v[20:21], v[40:41]
	v_dual_cndmask_b32 v41, -v27, v27, s1 :: v_dual_cndmask_b32 v40, -v26, v26, s1
	s_wait_dscnt 0xc
	v_pk_add_f32 v[8:9], v[24:25], v[42:43]
	v_dual_cndmask_b32 v25, -v45, v45, s1 :: v_dual_cndmask_b32 v24, -v44, v44, s1
	v_dual_cndmask_b32 v27, -v29, v29, s1 :: v_dual_cndmask_b32 v26, -v28, v28, s1
	;; [unrolled: 1-line block ×4, first 2 shown]
	s_wait_dscnt 0x8
	v_pk_add_f32 v[20:21], v[18:19], v[56:57]
	v_pk_add_f32 v[18:19], v[24:25], v[54:55]
	s_wait_dscnt 0x4
	v_pk_add_f32 v[26:27], v[26:27], v[46:47]
	v_pk_add_f32 v[24:25], v[40:41], v[36:37]
	s_wait_dscnt 0x1
	v_pk_add_f32 v[30:31], v[38:39], v[58:59]
	s_wait_dscnt 0x0
	v_pk_add_f32 v[28:29], v[28:29], v[48:49]
	s_barrier_wait -1
	ds_store_b128 v23, v[2:5]
	ds_store_b128 v23, v[14:17] offset:4096
	ds_store_b128 v23, v[10:13] offset:8192
	;; [unrolled: 1-line block ×7, first 2 shown]
	s_wait_dscnt 0x0
	s_barrier_signal -1
	s_barrier_wait -1
	ds_load_b128 v[10:13], v22
	ds_load_b128 v[14:17], v22 offset:8192
	ds_load_b128 v[2:5], v22 offset:16384
	;; [unrolled: 1-line block ×7, first 2 shown]
	s_mul_u64 s[4:5], s[10:11], s[16:17]
	s_delay_alu instid0(SALU_CYCLE_1) | instskip(NEXT) | instid1(SALU_CYCLE_1)
	s_lshl_b64 s[4:5], s[4:5], 1
	s_add_nc_u64 s[4:5], s[14:15], s[4:5]
	s_wait_dscnt 0x6
	v_pk_add_f32 v[34:35], v[12:13], v[16:17]
	v_pk_add_f32 v[36:37], v[10:11], v[14:15]
	s_wait_dscnt 0x4
	v_pk_add_f32 v[38:39], v[4:5], v[8:9]
	v_pk_add_f32 v[40:41], v[2:3], v[6:7]
	;; [unrolled: 3-line block ×4, first 2 shown]
	s_and_saveexec_b32 s1, s3
	s_cbranch_execz .LBB36_10
; %bb.9:
	s_mov_b32 s6, s8
	s_mov_b32 s7, s8
	v_mov_b64_e32 v[60:61], s[8:9]
	v_mov_b64_e32 v[56:57], s[6:7]
	v_pk_add_f32 v[54:55], v[34:35], v[38:39]
	v_pk_add_f32 v[58:59], v[42:43], v[46:47]
	;; [unrolled: 1-line block ×4, first 2 shown]
	s_delay_alu instid0(VALU_DEP_3) | instskip(SKIP_1) | instid1(VALU_DEP_4)
	v_pk_mul_f32 v[58:59], v[56:57], v[58:59]
	v_pk_mul_f32 v[54:55], v[56:57], v[54:55]
	;; [unrolled: 1-line block ×3, first 2 shown]
	s_delay_alu instid0(VALU_DEP_4) | instskip(NEXT) | instid1(VALU_DEP_4)
	v_pk_mul_f32 v[60:61], v[60:61], v[64:65]
	v_cvt_pk_bf16_f32 v57, v58, v59
	s_delay_alu instid0(VALU_DEP_4) | instskip(NEXT) | instid1(VALU_DEP_4)
	v_cvt_pk_bf16_f32 v55, v54, v55
	v_cvt_pk_bf16_f32 v56, v62, v63
	s_delay_alu instid0(VALU_DEP_4)
	v_cvt_pk_bf16_f32 v54, v60, v61
	global_store_b128 v0, v[54:57], s[4:5] scale_offset
.LBB36_10:
	s_wait_xcnt 0x0
	s_or_b32 exec_lo, exec_lo, s1
	v_dual_sub_f32 v1, v13, v17 :: v_dual_sub_f32 v0, v12, v16
	v_dual_sub_f32 v11, v11, v15 :: v_dual_sub_f32 v10, v10, v14
	;; [unrolled: 1-line block ×8, first 2 shown]
	s_and_saveexec_b32 s1, vcc_lo
	s_cbranch_execnz .LBB36_14
; %bb.11:
	s_or_b32 exec_lo, exec_lo, s1
	s_and_saveexec_b32 s1, s2
	s_cbranch_execnz .LBB36_15
.LBB36_12:
	s_or_b32 exec_lo, exec_lo, s1
	s_and_saveexec_b32 s1, s0
	s_cbranch_execnz .LBB36_16
.LBB36_13:
	s_sendmsg sendmsg(MSG_DEALLOC_VGPRS)
	s_endpgm
.LBB36_14:
	s_mov_b32 s6, s8
	s_mov_b32 s7, s8
	v_mov_b64_e32 v[22:23], s[8:9]
	v_mov_b64_e32 v[18:19], s[6:7]
	v_pk_add_f32 v[16:17], v[0:1], v[4:5]
	v_pk_add_f32 v[20:21], v[6:7], v[12:13]
	;; [unrolled: 1-line block ×4, first 2 shown]
	s_delay_alu instid0(VALU_DEP_3) | instskip(SKIP_1) | instid1(VALU_DEP_4)
	v_pk_mul_f32 v[20:21], v[18:19], v[20:21]
	v_pk_mul_f32 v[16:17], v[18:19], v[16:17]
	;; [unrolled: 1-line block ×3, first 2 shown]
	s_delay_alu instid0(VALU_DEP_4) | instskip(NEXT) | instid1(VALU_DEP_4)
	v_pk_mul_f32 v[22:23], v[22:23], v[26:27]
	v_cvt_pk_bf16_f32 v19, v20, v21
	s_delay_alu instid0(VALU_DEP_4) | instskip(NEXT) | instid1(VALU_DEP_4)
	v_cvt_pk_bf16_f32 v17, v16, v17
	v_cvt_pk_bf16_f32 v18, v24, v25
	s_delay_alu instid0(VALU_DEP_4)
	v_cvt_pk_bf16_f32 v16, v22, v23
	global_store_b128 v51, v[16:19], s[4:5] scale_offset
	s_wait_xcnt 0x0
	s_or_b32 exec_lo, exec_lo, s1
	s_and_saveexec_b32 s1, s2
	s_cbranch_execz .LBB36_12
.LBB36_15:
	s_mov_b32 s2, s8
	s_mov_b32 s3, s8
	v_mov_b64_e32 v[22:23], s[8:9]
	v_mov_b64_e32 v[20:21], s[2:3]
	v_dual_sub_f32 v17, v37, v41 :: v_dual_sub_f32 v19, v35, v39
	v_dual_sub_f32 v25, v45, v49 :: v_dual_sub_f32 v27, v43, v47
	;; [unrolled: 1-line block ×4, first 2 shown]
	s_delay_alu instid0(VALU_DEP_2) | instskip(NEXT) | instid1(VALU_DEP_3)
	v_pk_mul_f32 v[26:27], v[20:21], v[26:27]
	v_pk_mul_f32 v[24:25], v[22:23], v[24:25]
	s_delay_alu instid0(VALU_DEP_3) | instskip(NEXT) | instid1(VALU_DEP_4)
	v_pk_mul_f32 v[20:21], v[20:21], v[18:19]
	v_pk_mul_f32 v[22:23], v[22:23], v[16:17]
	s_delay_alu instid0(VALU_DEP_4) | instskip(NEXT) | instid1(VALU_DEP_4)
	v_cvt_pk_bf16_f32 v19, v26, v27
	v_cvt_pk_bf16_f32 v18, v24, v25
	s_delay_alu instid0(VALU_DEP_4) | instskip(NEXT) | instid1(VALU_DEP_4)
	v_cvt_pk_bf16_f32 v17, v20, v21
	v_cvt_pk_bf16_f32 v16, v22, v23
	global_store_b128 v50, v[16:19], s[4:5] scale_offset
	s_wait_xcnt 0x0
	s_or_b32 exec_lo, exec_lo, s1
	s_and_saveexec_b32 s1, s0
	s_cbranch_execz .LBB36_13
.LBB36_16:
	s_mov_b32 s0, s8
	s_mov_b32 s1, s8
	v_mov_b64_e32 v[18:19], s[8:9]
	v_mov_b64_e32 v[16:17], s[0:1]
	v_dual_sub_f32 v3, v11, v3 :: v_dual_sub_f32 v1, v1, v5
	v_dual_sub_f32 v9, v9, v15 :: v_dual_sub_f32 v7, v7, v13
	;; [unrolled: 1-line block ×4, first 2 shown]
	s_delay_alu instid0(VALU_DEP_2) | instskip(NEXT) | instid1(VALU_DEP_3)
	v_pk_mul_f32 v[4:5], v[16:17], v[6:7]
	v_pk_mul_f32 v[6:7], v[18:19], v[8:9]
	s_delay_alu instid0(VALU_DEP_3) | instskip(NEXT) | instid1(VALU_DEP_4)
	v_pk_mul_f32 v[0:1], v[16:17], v[0:1]
	v_pk_mul_f32 v[8:9], v[18:19], v[2:3]
	s_delay_alu instid0(VALU_DEP_4) | instskip(NEXT) | instid1(VALU_DEP_4)
	v_cvt_pk_bf16_f32 v3, v4, v5
	v_cvt_pk_bf16_f32 v2, v6, v7
	s_delay_alu instid0(VALU_DEP_4) | instskip(NEXT) | instid1(VALU_DEP_4)
	v_cvt_pk_bf16_f32 v1, v0, v1
	v_cvt_pk_bf16_f32 v0, v8, v9
	global_store_b128 v52, v[0:3], s[4:5] scale_offset
	s_sendmsg sendmsg(MSG_DEALLOC_VGPRS)
	s_endpgm
	.section	.rodata,"a",@progbits
	.p2align	6, 0x0
	.amdhsa_kernel _Z30fast_hadamard_transform_kernelI37fast_hadamard_transform_kernel_traitsILi256ELi13E14__hip_bfloat16EEv18HadamardParamsBase
		.amdhsa_group_segment_fixed_size 0
		.amdhsa_private_segment_fixed_size 0
		.amdhsa_kernarg_size 312
		.amdhsa_user_sgpr_count 2
		.amdhsa_user_sgpr_dispatch_ptr 0
		.amdhsa_user_sgpr_queue_ptr 0
		.amdhsa_user_sgpr_kernarg_segment_ptr 1
		.amdhsa_user_sgpr_dispatch_id 0
		.amdhsa_user_sgpr_kernarg_preload_length 0
		.amdhsa_user_sgpr_kernarg_preload_offset 0
		.amdhsa_user_sgpr_private_segment_size 0
		.amdhsa_wavefront_size32 1
		.amdhsa_uses_dynamic_stack 0
		.amdhsa_enable_private_segment 0
		.amdhsa_system_sgpr_workgroup_id_x 1
		.amdhsa_system_sgpr_workgroup_id_y 0
		.amdhsa_system_sgpr_workgroup_id_z 0
		.amdhsa_system_sgpr_workgroup_info 0
		.amdhsa_system_vgpr_workitem_id 0
		.amdhsa_next_free_vgpr 66
		.amdhsa_next_free_sgpr 18
		.amdhsa_named_barrier_count 0
		.amdhsa_reserve_vcc 1
		.amdhsa_float_round_mode_32 0
		.amdhsa_float_round_mode_16_64 0
		.amdhsa_float_denorm_mode_32 3
		.amdhsa_float_denorm_mode_16_64 3
		.amdhsa_fp16_overflow 0
		.amdhsa_memory_ordered 1
		.amdhsa_forward_progress 1
		.amdhsa_inst_pref_size 61
		.amdhsa_round_robin_scheduling 0
		.amdhsa_exception_fp_ieee_invalid_op 0
		.amdhsa_exception_fp_denorm_src 0
		.amdhsa_exception_fp_ieee_div_zero 0
		.amdhsa_exception_fp_ieee_overflow 0
		.amdhsa_exception_fp_ieee_underflow 0
		.amdhsa_exception_fp_ieee_inexact 0
		.amdhsa_exception_int_div_zero 0
	.end_amdhsa_kernel
	.section	.text._Z30fast_hadamard_transform_kernelI37fast_hadamard_transform_kernel_traitsILi256ELi13E14__hip_bfloat16EEv18HadamardParamsBase,"axG",@progbits,_Z30fast_hadamard_transform_kernelI37fast_hadamard_transform_kernel_traitsILi256ELi13E14__hip_bfloat16EEv18HadamardParamsBase,comdat
.Lfunc_end36:
	.size	_Z30fast_hadamard_transform_kernelI37fast_hadamard_transform_kernel_traitsILi256ELi13E14__hip_bfloat16EEv18HadamardParamsBase, .Lfunc_end36-_Z30fast_hadamard_transform_kernelI37fast_hadamard_transform_kernel_traitsILi256ELi13E14__hip_bfloat16EEv18HadamardParamsBase
                                        ; -- End function
	.set _Z30fast_hadamard_transform_kernelI37fast_hadamard_transform_kernel_traitsILi256ELi13E14__hip_bfloat16EEv18HadamardParamsBase.num_vgpr, 66
	.set _Z30fast_hadamard_transform_kernelI37fast_hadamard_transform_kernel_traitsILi256ELi13E14__hip_bfloat16EEv18HadamardParamsBase.num_agpr, 0
	.set _Z30fast_hadamard_transform_kernelI37fast_hadamard_transform_kernel_traitsILi256ELi13E14__hip_bfloat16EEv18HadamardParamsBase.numbered_sgpr, 18
	.set _Z30fast_hadamard_transform_kernelI37fast_hadamard_transform_kernel_traitsILi256ELi13E14__hip_bfloat16EEv18HadamardParamsBase.num_named_barrier, 0
	.set _Z30fast_hadamard_transform_kernelI37fast_hadamard_transform_kernel_traitsILi256ELi13E14__hip_bfloat16EEv18HadamardParamsBase.private_seg_size, 0
	.set _Z30fast_hadamard_transform_kernelI37fast_hadamard_transform_kernel_traitsILi256ELi13E14__hip_bfloat16EEv18HadamardParamsBase.uses_vcc, 1
	.set _Z30fast_hadamard_transform_kernelI37fast_hadamard_transform_kernel_traitsILi256ELi13E14__hip_bfloat16EEv18HadamardParamsBase.uses_flat_scratch, 0
	.set _Z30fast_hadamard_transform_kernelI37fast_hadamard_transform_kernel_traitsILi256ELi13E14__hip_bfloat16EEv18HadamardParamsBase.has_dyn_sized_stack, 0
	.set _Z30fast_hadamard_transform_kernelI37fast_hadamard_transform_kernel_traitsILi256ELi13E14__hip_bfloat16EEv18HadamardParamsBase.has_recursion, 0
	.set _Z30fast_hadamard_transform_kernelI37fast_hadamard_transform_kernel_traitsILi256ELi13E14__hip_bfloat16EEv18HadamardParamsBase.has_indirect_call, 0
	.section	.AMDGPU.csdata,"",@progbits
; Kernel info:
; codeLenInByte = 7732
; TotalNumSgprs: 20
; NumVgprs: 66
; ScratchSize: 0
; MemoryBound: 0
; FloatMode: 240
; IeeeMode: 1
; LDSByteSize: 0 bytes/workgroup (compile time only)
; SGPRBlocks: 0
; VGPRBlocks: 4
; NumSGPRsForWavesPerEU: 20
; NumVGPRsForWavesPerEU: 66
; NamedBarCnt: 0
; Occupancy: 12
; WaveLimiterHint : 0
; COMPUTE_PGM_RSRC2:SCRATCH_EN: 0
; COMPUTE_PGM_RSRC2:USER_SGPR: 2
; COMPUTE_PGM_RSRC2:TRAP_HANDLER: 0
; COMPUTE_PGM_RSRC2:TGID_X_EN: 1
; COMPUTE_PGM_RSRC2:TGID_Y_EN: 0
; COMPUTE_PGM_RSRC2:TGID_Z_EN: 0
; COMPUTE_PGM_RSRC2:TIDIG_COMP_CNT: 0
	.section	.text._Z30fast_hadamard_transform_kernelI37fast_hadamard_transform_kernel_traitsILi256ELi14E14__hip_bfloat16EEv18HadamardParamsBase,"axG",@progbits,_Z30fast_hadamard_transform_kernelI37fast_hadamard_transform_kernel_traitsILi256ELi14E14__hip_bfloat16EEv18HadamardParamsBase,comdat
	.protected	_Z30fast_hadamard_transform_kernelI37fast_hadamard_transform_kernel_traitsILi256ELi14E14__hip_bfloat16EEv18HadamardParamsBase ; -- Begin function _Z30fast_hadamard_transform_kernelI37fast_hadamard_transform_kernel_traitsILi256ELi14E14__hip_bfloat16EEv18HadamardParamsBase
	.globl	_Z30fast_hadamard_transform_kernelI37fast_hadamard_transform_kernel_traitsILi256ELi14E14__hip_bfloat16EEv18HadamardParamsBase
	.p2align	8
	.type	_Z30fast_hadamard_transform_kernelI37fast_hadamard_transform_kernel_traitsILi256ELi14E14__hip_bfloat16EEv18HadamardParamsBase,@function
_Z30fast_hadamard_transform_kernelI37fast_hadamard_transform_kernel_traitsILi256ELi14E14__hip_bfloat16EEv18HadamardParamsBase: ; @_Z30fast_hadamard_transform_kernelI37fast_hadamard_transform_kernel_traitsILi256ELi14E14__hip_bfloat16EEv18HadamardParamsBase
; %bb.0:
	s_clause 0x1
	s_load_b128 s[16:19], s[0:1], 0x10
	s_load_b32 s9, s[0:1], 0x4
	s_bfe_u32 s2, ttmp6, 0x4000c
	s_load_b128 s[12:15], s[0:1], 0x28
	s_add_co_i32 s5, s2, 1
	s_load_b32 s2, s[0:1], 0x44
	s_and_b32 s3, ttmp6, 15
	s_mul_i32 s5, ttmp9, s5
	s_getreg_b32 s4, hwreg(HW_REG_IB_STS2, 6, 4)
	s_add_co_i32 s3, s3, s5
	s_cmp_eq_u32 s4, 0
	v_dual_mov_b32 v39, 0 :: v_dual_lshlrev_b32 v2, 3, v0
	s_cselect_b32 s20, ttmp9, s3
	v_dual_mov_b32 v1, 0 :: v_dual_mov_b32 v38, 0
	s_ashr_i32 s21, s20, 31
	v_dual_mov_b32 v40, 0 :: v_dual_mov_b32 v43, 0
	v_dual_mov_b32 v41, 0 :: v_dual_mov_b32 v44, 0
	s_wait_kmcnt 0x0
	s_mul_u64 s[4:5], s[16:17], s[20:21]
	v_cmp_gt_u32_e64 s8, s9, v2
	v_dual_mov_b32 v42, 0 :: v_dual_mov_b32 v45, 0
	s_lshl_b64 s[4:5], s[4:5], 1
	s_delay_alu instid0(SALU_CYCLE_1)
	s_add_nc_u64 s[10:11], s[12:13], s[4:5]
	s_and_saveexec_b32 s3, s8
	s_cbranch_execz .LBB37_2
; %bb.1:
	global_load_b128 v[2:5], v0, s[10:11] scale_offset
	s_wait_loadcnt 0x0
	v_dual_lshlrev_b32 v42, 16, v2 :: v_dual_lshlrev_b32 v41, 16, v3
	v_and_b32_e32 v45, 0xffff0000, v2
	v_and_b32_e32 v44, 0xffff0000, v3
	v_dual_lshlrev_b32 v40, 16, v4 :: v_dual_lshlrev_b32 v38, 16, v5
	v_and_b32_e32 v43, 0xffff0000, v4
	v_and_b32_e32 v39, 0xffff0000, v5
.LBB37_2:
	s_or_b32 exec_lo, exec_lo, s3
	s_and_b32 s12, 0xffff, s2
	v_dual_mov_b32 v48, 0 :: v_dual_mov_b32 v49, 0
	v_dual_mov_b32 v47, 0 :: v_dual_add_nc_u32 v132, s12, v0
	v_dual_mov_b32 v46, 0 :: v_dual_mov_b32 v51, 0
	s_delay_alu instid0(VALU_DEP_2) | instskip(SKIP_1) | instid1(VALU_DEP_2)
	v_dual_mov_b32 v50, 0 :: v_dual_lshlrev_b32 v2, 3, v132
	v_mov_b32_e32 v52, 0
	v_cmp_gt_u32_e64 s7, s9, v2
	s_and_saveexec_b32 s2, s7
	s_cbranch_execz .LBB37_4
; %bb.3:
	global_load_b128 v[2:5], v132, s[10:11] scale_offset
	s_wait_loadcnt 0x0
	v_dual_lshlrev_b32 v50, 16, v2 :: v_dual_lshlrev_b32 v49, 16, v3
	v_and_b32_e32 v52, 0xffff0000, v2
	v_and_b32_e32 v51, 0xffff0000, v3
	v_dual_lshlrev_b32 v46, 16, v4 :: v_dual_lshlrev_b32 v1, 16, v5
	v_and_b32_e32 v48, 0xffff0000, v4
	v_and_b32_e32 v47, 0xffff0000, v5
.LBB37_4:
	s_or_b32 exec_lo, exec_lo, s2
	v_dual_add_nc_u32 v131, s12, v132 :: v_dual_mov_b32 v53, 0
	v_dual_mov_b32 v55, 0 :: v_dual_mov_b32 v54, 0
	s_delay_alu instid0(VALU_DEP_2) | instskip(SKIP_2) | instid1(VALU_DEP_3)
	v_dual_mov_b32 v56, 0 :: v_dual_lshlrev_b32 v2, 3, v131
	v_dual_mov_b32 v57, 0 :: v_dual_mov_b32 v58, 0
	v_dual_mov_b32 v60, 0 :: v_dual_mov_b32 v59, 0
	v_cmp_gt_u32_e64 s6, s9, v2
	v_mov_b32_e32 v61, 0
	s_and_saveexec_b32 s2, s6
	s_cbranch_execz .LBB37_6
; %bb.5:
	global_load_b128 v[2:5], v131, s[10:11] scale_offset
	s_wait_loadcnt 0x0
	v_dual_lshlrev_b32 v59, 16, v2 :: v_dual_lshlrev_b32 v58, 16, v3
	v_and_b32_e32 v61, 0xffff0000, v2
	v_and_b32_e32 v60, 0xffff0000, v3
	v_dual_lshlrev_b32 v55, 16, v4 :: v_dual_lshlrev_b32 v54, 16, v5
	v_and_b32_e32 v57, 0xffff0000, v4
	v_and_b32_e32 v56, 0xffff0000, v5
.LBB37_6:
	s_or_b32 exec_lo, exec_lo, s2
	v_dual_add_nc_u32 v129, s12, v131 :: v_dual_mov_b32 v63, 0
	v_dual_mov_b32 v62, 0 :: v_dual_mov_b32 v64, 0
	s_delay_alu instid0(VALU_DEP_2) | instskip(SKIP_2) | instid1(VALU_DEP_3)
	v_dual_mov_b32 v65, 0 :: v_dual_lshlrev_b32 v2, 3, v129
	v_dual_mov_b32 v67, 0 :: v_dual_mov_b32 v66, 0
	v_mov_b32_e32 v68, 0
	v_cmp_gt_u32_e64 s2, s9, v2
	s_and_saveexec_b32 s3, s2
	s_cbranch_execz .LBB37_8
; %bb.7:
	global_load_b128 v[2:5], v129, s[10:11] scale_offset
	s_wait_loadcnt 0x0
	v_dual_lshlrev_b32 v66, 16, v2 :: v_dual_lshlrev_b32 v65, 16, v3
	v_and_b32_e32 v68, 0xffff0000, v2
	v_and_b32_e32 v67, 0xffff0000, v3
	v_dual_lshlrev_b32 v62, 16, v4 :: v_dual_lshlrev_b32 v53, 16, v5
	v_and_b32_e32 v64, 0xffff0000, v4
	v_and_b32_e32 v63, 0xffff0000, v5
.LBB37_8:
	s_or_b32 exec_lo, exec_lo, s3
	v_dual_mov_b32 v16, 0 :: v_dual_add_nc_u32 v127, s12, v129
	v_dual_mov_b32 v8, 0 :: v_dual_mov_b32 v22, 0
	s_delay_alu instid0(VALU_DEP_2) | instskip(SKIP_2) | instid1(VALU_DEP_3)
	v_dual_mov_b32 v23, 0 :: v_dual_lshlrev_b32 v3, 3, v127
	v_dual_mov_b32 v9, 0 :: v_dual_mov_b32 v4, 0
	v_dual_mov_b32 v5, 0 :: v_dual_mov_b32 v2, 0
	v_cmp_gt_u32_e64 s5, s9, v3
	v_mov_b32_e32 v3, 0
	s_and_saveexec_b32 s3, s5
	s_cbranch_execz .LBB37_10
; %bb.9:
	global_load_b128 v[4:7], v127, s[10:11] scale_offset
	s_wait_loadcnt 0x0
	v_lshlrev_b32_e32 v2, 16, v4
	v_and_b32_e32 v3, 0xffff0000, v4
	v_lshlrev_b32_e32 v4, 16, v5
	v_and_b32_e32 v5, 0xffff0000, v5
	v_dual_lshlrev_b32 v8, 16, v6 :: v_dual_lshlrev_b32 v22, 16, v7
	v_and_b32_e32 v9, 0xffff0000, v6
	v_and_b32_e32 v23, 0xffff0000, v7
.LBB37_10:
	s_or_b32 exec_lo, exec_lo, s3
	v_dual_mov_b32 v17, 0 :: v_dual_add_nc_u32 v128, s12, v127
	v_dual_mov_b32 v14, 0 :: v_dual_mov_b32 v15, 0
	s_delay_alu instid0(VALU_DEP_2) | instskip(SKIP_1) | instid1(VALU_DEP_2)
	v_dual_mov_b32 v12, 0 :: v_dual_lshlrev_b32 v7, 3, v128
	v_dual_mov_b32 v13, 0 :: v_dual_mov_b32 v6, 0
	v_cmp_gt_u32_e64 s3, s9, v7
	v_mov_b32_e32 v7, 0
	s_and_saveexec_b32 s4, s3
	s_cbranch_execz .LBB37_12
; %bb.11:
	global_load_b128 v[14:17], v128, s[10:11] scale_offset
	s_wait_loadcnt 0x0
	v_dual_lshlrev_b32 v6, 16, v14 :: v_dual_lshlrev_b32 v12, 16, v15
	v_and_b32_e32 v7, 0xffff0000, v14
	v_and_b32_e32 v13, 0xffff0000, v15
	v_lshlrev_b32_e32 v14, 16, v16
	v_and_b32_e32 v15, 0xffff0000, v16
	v_lshlrev_b32_e32 v16, 16, v17
	v_and_b32_e32 v17, 0xffff0000, v17
.LBB37_12:
	s_or_b32 exec_lo, exec_lo, s4
	v_dual_add_nc_u32 v126, s12, v128 :: v_dual_mov_b32 v34, 0
	v_dual_mov_b32 v20, 0 :: v_dual_mov_b32 v36, 0
	s_delay_alu instid0(VALU_DEP_2) | instskip(SKIP_2) | instid1(VALU_DEP_3)
	v_dual_mov_b32 v37, 0 :: v_dual_lshlrev_b32 v11, 3, v126
	v_dual_mov_b32 v21, 0 :: v_dual_mov_b32 v18, 0
	v_dual_mov_b32 v19, 0 :: v_dual_mov_b32 v10, 0
	v_cmp_gt_u32_e64 s4, s9, v11
	v_mov_b32_e32 v11, 0
	s_and_saveexec_b32 s13, s4
	s_cbranch_execz .LBB37_14
; %bb.13:
	global_load_b128 v[24:27], v126, s[10:11] scale_offset
	s_wait_loadcnt 0x0
	v_dual_lshlrev_b32 v10, 16, v24 :: v_dual_lshlrev_b32 v18, 16, v25
	v_and_b32_e32 v11, 0xffff0000, v24
	v_and_b32_e32 v19, 0xffff0000, v25
	v_dual_lshlrev_b32 v20, 16, v26 :: v_dual_lshlrev_b32 v36, 16, v27
	v_and_b32_e32 v21, 0xffff0000, v26
	v_and_b32_e32 v37, 0xffff0000, v27
.LBB37_14:
	s_or_b32 exec_lo, exec_lo, s13
	v_dual_mov_b32 v35, 0 :: v_dual_add_nc_u32 v130, s12, v126
	s_load_b32 s12, s[0:1], 0x20
	v_dual_mov_b32 v31, 0 :: v_dual_mov_b32 v28, 0
	s_delay_alu instid0(VALU_DEP_2) | instskip(SKIP_1) | instid1(VALU_DEP_2)
	v_dual_mov_b32 v25, 0 :: v_dual_lshlrev_b32 v24, 3, v130
	v_dual_mov_b32 v29, 0 :: v_dual_mov_b32 v30, 0
	v_cmp_gt_u32_e32 vcc_lo, s9, v24
	v_mov_b32_e32 v24, 0
	s_wait_xcnt 0x0
	s_and_saveexec_b32 s0, vcc_lo
	s_cbranch_execz .LBB37_16
; %bb.15:
	global_load_b128 v[24:27], v130, s[10:11] scale_offset
	s_wait_loadcnt 0x0
	v_dual_lshlrev_b32 v28, 16, v24 :: v_dual_lshlrev_b32 v30, 16, v25
	v_and_b32_e32 v29, 0xffff0000, v24
	v_and_b32_e32 v31, 0xffff0000, v25
	v_dual_lshlrev_b32 v24, 16, v26 :: v_dual_lshlrev_b32 v34, 16, v27
	v_and_b32_e32 v25, 0xffff0000, v26
	v_and_b32_e32 v35, 0xffff0000, v27
.LBB37_16:
	s_or_b32 exec_lo, exec_lo, s0
	v_pk_add_f32 v[32:33], v[6:7], v[6:7] op_sel_hi:[0,1] neg_lo:[0,1] neg_hi:[0,1]
	v_pk_add_f32 v[26:27], v[2:3], v[2:3] op_sel_hi:[0,1] neg_lo:[0,1] neg_hi:[0,1]
	v_add_f32_e32 v26, v2, v3
	v_add_f32_e32 v2, v6, v7
	v_pk_add_f32 v[6:7], v[10:11], v[10:11] op_sel_hi:[0,1] neg_lo:[0,1] neg_hi:[0,1]
	v_mov_b32_e32 v3, v33
	v_pk_add_f32 v[32:33], v[28:29], v[28:29] op_sel_hi:[0,1] neg_lo:[0,1] neg_hi:[0,1]
	v_add_f32_e32 v6, v10, v11
	v_pk_add_f32 v[70:71], v[4:5], v[4:5] op_sel_hi:[0,1] neg_lo:[0,1] neg_hi:[0,1]
	v_add_f32_e32 v10, v28, v29
	s_delay_alu instid0(VALU_DEP_4) | instskip(SKIP_1) | instid1(VALU_DEP_4)
	v_dual_add_f32 v28, v4, v5 :: v_dual_mov_b32 v11, v33
	v_pk_add_f32 v[32:33], v[12:13], v[12:13] op_sel_hi:[0,1] neg_lo:[0,1] neg_hi:[0,1]
	v_mov_b32_e32 v29, v71
	v_pk_add_f32 v[70:71], v[18:19], v[18:19] op_sel_hi:[0,1] neg_lo:[0,1] neg_hi:[0,1]
	v_add_f32_e32 v4, v12, v13
	v_pk_add_f32 v[12:13], v[30:31], v[30:31] op_sel_hi:[0,1] neg_lo:[0,1] neg_hi:[0,1]
	v_mov_b32_e32 v5, v33
	v_pk_add_f32 v[32:33], v[8:9], v[8:9] op_sel_hi:[0,1] neg_lo:[0,1] neg_hi:[0,1]
	v_dual_add_f32 v18, v18, v19 :: v_dual_mov_b32 v19, v71
	v_dual_add_f32 v12, v30, v31 :: v_dual_add_f32 v30, v8, v9
	v_pk_add_f32 v[70:71], v[14:15], v[14:15] op_sel_hi:[0,1] neg_lo:[0,1] neg_hi:[0,1]
	s_delay_alu instid0(VALU_DEP_4) | instskip(SKIP_2) | instid1(VALU_DEP_4)
	v_dual_mov_b32 v31, v33 :: v_dual_add_f32 v8, v14, v15
	v_pk_add_f32 v[32:33], v[20:21], v[20:21] op_sel_hi:[0,1] neg_lo:[0,1] neg_hi:[0,1]
	v_pk_add_f32 v[14:15], v[24:25], v[24:25] op_sel_hi:[0,1] neg_lo:[0,1] neg_hi:[0,1]
	v_dual_mov_b32 v9, v71 :: v_dual_add_f32 v20, v20, v21
	s_delay_alu instid0(VALU_DEP_3)
	v_dual_add_f32 v14, v24, v25 :: v_dual_mov_b32 v21, v33
	v_pk_add_f32 v[32:33], v[22:23], v[22:23] op_sel_hi:[0,1] neg_lo:[0,1] neg_hi:[0,1]
	v_pk_add_f32 v[24:25], v[16:17], v[16:17] op_sel_hi:[0,1] neg_lo:[0,1] neg_hi:[0,1]
	v_dual_add_f32 v32, v22, v23 :: v_dual_add_f32 v24, v16, v17
	v_add_f32_e32 v22, v36, v37
	v_pk_add_f32 v[16:17], v[36:37], v[36:37] op_sel_hi:[0,1] neg_lo:[0,1] neg_hi:[0,1]
	v_pk_add_f32 v[36:37], v[34:35], v[34:35] op_sel_hi:[0,1] neg_lo:[0,1] neg_hi:[0,1]
	v_dual_add_f32 v36, v38, v39 :: v_dual_sub_f32 v38, v38, v39
	v_dual_sub_f32 v39, v40, v43 :: v_dual_add_f32 v69, v43, v40
	v_dual_add_f32 v70, v45, v42 :: v_dual_add_f32 v71, v44, v41
	v_dual_mov_b32 v23, v17 :: v_dual_add_f32 v16, v34, v35
	v_dual_add_f32 v34, v52, v50 :: v_dual_add_f32 v35, v51, v49
	v_dual_add_f32 v72, v48, v46 :: v_dual_add_f32 v73, v47, v1
	v_dual_mov_b32 v17, v37 :: v_dual_sub_f32 v40, v42, v45
	v_dual_sub_f32 v41, v41, v44 :: v_dual_add_f32 v44, v39, v38
	v_dual_sub_f32 v45, v50, v52 :: v_dual_sub_f32 v49, v49, v51
	v_dual_sub_f32 v46, v46, v48 :: v_dual_sub_f32 v47, v1, v47
	v_dual_sub_f32 v48, v59, v61 :: v_dual_add_f32 v37, v69, v36
	v_dual_add_f32 v74, v71, v70 :: v_dual_add_f32 v77, v61, v59
	v_dual_add_f32 v78, v60, v58 :: v_dual_add_f32 v79, v57, v55
	v_add_f32_e32 v80, v56, v54
	v_dual_add_f32 v84, v68, v66 :: v_dual_add_f32 v87, v63, v53
	v_dual_add_f32 v1, v41, v40 :: v_dual_add_f32 v52, v47, v46
	v_dual_sub_f32 v50, v58, v60 :: v_dual_add_f32 v51, v49, v45
	v_dual_sub_f32 v55, v55, v57 :: v_dual_sub_f32 v54, v54, v56
	v_dual_sub_f32 v61, v62, v64 :: v_dual_sub_f32 v53, v53, v63
	v_dual_sub_f32 v36, v69, v36 :: v_dual_sub_f32 v63, v70, v71
	v_dual_add_f32 v75, v35, v34 :: v_dual_add_f32 v76, v73, v72
	v_dual_add_f32 v83, v80, v79 :: v_dual_add_f32 v85, v67, v65
	v_dual_add_f32 v56, v1, v44 :: v_dual_sub_f32 v44, v1, v44
	v_dual_add_f32 v57, v52, v51 :: v_dual_add_f32 v1, v50, v48
	v_dual_add_f32 v58, v54, v55 :: v_dual_sub_f32 v51, v51, v52
	v_dual_sub_f32 v59, v66, v68 :: v_dual_sub_f32 v60, v65, v67
	v_dual_sub_f32 v34, v34, v35 :: v_dual_sub_f32 v35, v72, v73
	v_dual_add_f32 v65, v63, v36 :: v_dual_sub_f32 v36, v63, v36
	v_mbcnt_lo_u32_b32 v63, -1, 0
	v_dual_add_f32 v86, v64, v62 :: v_dual_add_f32 v52, v58, v1
	v_dual_sub_f32 v58, v1, v58 :: v_dual_add_f32 v1, v60, v59
	v_dual_add_f32 v62, v53, v61 :: v_dual_add_f32 v66, v35, v34
	v_sub_f32_e32 v34, v34, v35
	v_dual_sub_f32 v68, v84, v85 :: v_dual_bitop2_b32 v35, 1, v63 bitop3:0x14
	s_delay_alu instid0(VALU_DEP_3) | instskip(SKIP_1) | instid1(VALU_DEP_3)
	v_dual_add_f32 v64, v62, v1 :: v_dual_sub_f32 v62, v1, v62
	v_dual_sub_f32 v1, v77, v78 :: v_dual_sub_f32 v67, v79, v80
	v_cmp_gt_i32_e64 s0, 32, v35
	v_dual_add_f32 v81, v74, v37 :: v_dual_sub_f32 v37, v74, v37
	v_dual_add_f32 v74, v76, v75 :: v_dual_add_f32 v82, v78, v77
	v_dual_sub_f32 v75, v75, v76 :: v_dual_sub_f32 v69, v86, v87
	v_add_f32_e32 v70, v67, v1
	v_cndmask_b32_e64 v35, v63, v35, s0
	v_dual_sub_f32 v38, v39, v38 :: v_dual_sub_f32 v39, v40, v41
	s_delay_alu instid0(VALU_DEP_4) | instskip(NEXT) | instid1(VALU_DEP_3)
	v_dual_sub_f32 v40, v1, v67 :: v_dual_sub_f32 v67, v68, v69
	v_dual_add_f32 v41, v69, v68 :: v_dual_lshlrev_b32 v1, 2, v35
	s_delay_alu instid0(VALU_DEP_3)
	v_dual_add_f32 v35, v39, v38 :: v_dual_sub_f32 v45, v45, v49
	v_dual_sub_f32 v46, v46, v47 :: v_dual_sub_f32 v47, v48, v50
	ds_bpermute_b32 v48, v1, v81
	ds_bpermute_b32 v49, v1, v56
	v_dual_sub_f32 v50, v55, v54 :: v_dual_bitop2_b32 v54, 1, v0 bitop3:0x40
	v_dual_sub_f32 v38, v39, v38 :: v_dual_add_f32 v39, v46, v45
	v_dual_sub_f32 v45, v45, v46 :: v_dual_sub_f32 v55, v59, v60
	s_delay_alu instid0(VALU_DEP_3)
	v_cmp_eq_u32_e64 s0, 0, v54
	ds_bpermute_b32 v54, v1, v65
	ds_bpermute_b32 v60, v1, v37
	v_sub_f32_e32 v53, v61, v53
	ds_bpermute_b32 v59, v1, v35
	ds_bpermute_b32 v61, v1, v44
	v_dual_cndmask_b32 v68, -v81, v81, s0 :: v_dual_cndmask_b32 v56, -v56, v56, s0
	v_dual_add_f32 v46, v50, v47 :: v_dual_sub_f32 v47, v47, v50
	v_dual_add_f32 v50, v53, v55 :: v_dual_sub_f32 v53, v55, v53
	s_wait_dscnt 0x5
	s_delay_alu instid0(VALU_DEP_3)
	v_dual_add_f32 v48, v68, v48 :: v_dual_cndmask_b32 v55, -v65, v65, s0
	s_wait_dscnt 0x4
	v_dual_add_f32 v49, v56, v49 :: v_dual_cndmask_b32 v35, -v35, v35, s0
	ds_bpermute_b32 v56, v1, v36
	ds_bpermute_b32 v65, v1, v38
	ds_bpermute_b32 v69, v1, v57
	v_dual_cndmask_b32 v37, -v37, v37, s0 :: v_dual_cndmask_b32 v44, -v44, v44, s0
	ds_bpermute_b32 v68, v1, v74
	ds_bpermute_b32 v71, v1, v66
	s_wait_dscnt 0x7
	v_dual_add_f32 v54, v55, v54 :: v_dual_add_f32 v37, v37, v60
	ds_bpermute_b32 v60, v1, v75
	s_wait_dscnt 0x6
	v_dual_add_f32 v35, v35, v59 :: v_dual_add_f32 v44, v44, v61
	ds_bpermute_b32 v61, v1, v51
	v_dual_cndmask_b32 v36, -v36, v36, s0 :: v_dual_cndmask_b32 v38, -v38, v38, s0
	v_dual_cndmask_b32 v55, -v74, v74, s0 :: v_dual_cndmask_b32 v57, -v57, v57, s0
	ds_bpermute_b32 v59, v1, v39
	ds_bpermute_b32 v72, v1, v34
	v_dual_add_f32 v76, v83, v82 :: v_dual_sub_f32 v82, v82, v83
	s_wait_dscnt 0x8
	v_dual_cndmask_b32 v66, -v66, v66, s0 :: v_dual_add_f32 v36, v36, v56
	s_wait_dscnt 0x7
	v_add_f32_e32 v38, v38, v65
	s_wait_dscnt 0x6
	v_dual_add_f32 v56, v57, v69 :: v_dual_cndmask_b32 v39, -v39, v39, s0
	v_dual_cndmask_b32 v57, -v75, v75, s0 :: v_dual_cndmask_b32 v34, -v34, v34, s0
	ds_bpermute_b32 v65, v1, v45
	ds_bpermute_b32 v73, v1, v70
	s_wait_dscnt 0x7
	v_add_f32_e32 v55, v55, v68
	s_wait_dscnt 0x5
	v_dual_cndmask_b32 v51, -v51, v51, s0 :: v_dual_add_f32 v57, v57, v60
	ds_bpermute_b32 v68, v1, v76
	v_add_f32_e32 v66, v66, v71
	ds_bpermute_b32 v71, v1, v40
	ds_bpermute_b32 v69, v1, v52
	ds_bpermute_b32 v74, v1, v46
	s_wait_dscnt 0x8
	v_add_f32_e32 v51, v51, v61
	ds_bpermute_b32 v60, v1, v82
	ds_bpermute_b32 v61, v1, v58
	s_wait_dscnt 0x8
	v_dual_add_f32 v39, v39, v59 :: v_dual_add_f32 v34, v34, v72
	v_dual_cndmask_b32 v45, -v45, v45, s0 :: v_dual_cndmask_b32 v59, -v76, v76, s0
	ds_bpermute_b32 v72, v1, v47
	v_dual_cndmask_b32 v52, -v52, v52, s0 :: v_dual_cndmask_b32 v70, -v70, v70, s0
	v_dual_add_f32 v83, v85, v84 :: v_dual_add_f32 v88, v87, v86
	s_wait_dscnt 0x8
	v_dual_cndmask_b32 v46, -v46, v46, s0 :: v_dual_add_f32 v45, v45, v65
	s_wait_dscnt 0x7
	v_dual_add_f32 v65, v70, v73 :: v_dual_cndmask_b32 v40, -v40, v40, s0
	v_dual_add_f32 v42, v88, v83 :: v_dual_sub_f32 v43, v83, v88
	s_wait_dscnt 0x4
	v_dual_add_f32 v59, v59, v68 :: v_dual_add_f32 v52, v52, v69
	s_delay_alu instid0(VALU_DEP_3)
	v_dual_cndmask_b32 v68, -v82, v82, s0 :: v_dual_add_f32 v40, v40, v71
	v_cndmask_b32_e64 v58, -v58, v58, s0
	s_wait_dscnt 0x3
	v_dual_add_f32 v46, v46, v74 :: v_dual_cndmask_b32 v47, -v47, v47, s0
	ds_bpermute_b32 v69, v1, v42
	ds_bpermute_b32 v70, v1, v64
	;; [unrolled: 1-line block ×4, first 2 shown]
	s_wait_dscnt 0x5
	v_dual_add_f32 v60, v68, v60 :: v_dual_add_f32 v58, v58, v61
	s_wait_dscnt 0x4
	v_dual_add_f32 v47, v47, v72 :: v_dual_cndmask_b32 v42, -v42, v42, s0
	v_xor_b32_e32 v61, 2, v63
	ds_bpermute_b32 v68, v1, v43
	ds_bpermute_b32 v71, v1, v62
	;; [unrolled: 1-line block ×3, first 2 shown]
	v_dual_cndmask_b32 v41, -v41, v41, s0 :: v_dual_cndmask_b32 v76, -v50, v50, s0
	v_cmp_gt_i32_e64 s1, 32, v61
	v_cndmask_b32_e64 v64, -v64, v64, s0
	ds_bpermute_b32 v75, v1, v53
	v_dual_cndmask_b32 v43, -v43, v43, s0 :: v_dual_cndmask_b32 v62, -v62, v62, s0
	v_cndmask_b32_e64 v67, -v67, v67, s0
	v_cndmask_b32_e64 v61, v63, v61, s1
	s_wait_dscnt 0x7
	v_add_f32_e32 v42, v42, v69
	s_wait_dscnt 0x5
	v_add_f32_e32 v41, v41, v73
	v_cndmask_b32_e64 v53, -v53, v53, s0
	s_wait_dscnt 0x0
	v_dual_add_f32 v61, v64, v70 :: v_dual_lshlrev_b32 v50, 2, v61
	v_dual_add_f32 v64, v76, v74 :: v_dual_bitop2_b32 v74, 2, v0 bitop3:0x40
	v_dual_add_f32 v43, v43, v68 :: v_dual_add_f32 v62, v62, v71
	ds_bpermute_b32 v69, v50, v48
	ds_bpermute_b32 v70, v50, v49
	v_cmp_eq_u32_e64 s1, 0, v74
	v_add_f32_e32 v67, v67, v72
	ds_bpermute_b32 v68, v50, v35
	ds_bpermute_b32 v71, v50, v37
	;; [unrolled: 1-line block ×4, first 2 shown]
	v_dual_cndmask_b32 v48, -v48, v48, s1 :: v_dual_cndmask_b32 v54, -v54, v54, s1
	v_cndmask_b32_e64 v49, -v49, v49, s1
	ds_bpermute_b32 v76, v50, v38
	v_add_f32_e32 v53, v53, v75
	v_dual_cndmask_b32 v35, -v35, v35, s1 :: v_dual_cndmask_b32 v37, -v37, v37, s1
	v_dual_cndmask_b32 v44, -v44, v44, s1 :: v_dual_cndmask_b32 v38, -v38, v38, s1
	ds_bpermute_b32 v74, v50, v36
	v_cndmask_b32_e64 v36, -v36, v36, s1
	ds_bpermute_b32 v75, v50, v45
	s_wait_dscnt 0x8
	v_add_f32_e32 v48, v48, v69
	ds_bpermute_b32 v69, v50, v55
	s_wait_dscnt 0x8
	v_add_f32_e32 v49, v49, v70
	ds_bpermute_b32 v70, v50, v56
	v_cndmask_b32_e64 v55, -v55, v55, s1
	s_wait_dscnt 0x7
	v_dual_add_f32 v37, v37, v71 :: v_dual_add_f32 v35, v35, v68
	s_wait_dscnt 0x6
	v_add_f32_e32 v44, v44, v72
	ds_bpermute_b32 v68, v50, v39
	ds_bpermute_b32 v71, v50, v57
	;; [unrolled: 1-line block ×3, first 2 shown]
	s_wait_dscnt 0x8
	v_add_f32_e32 v54, v54, v73
	ds_bpermute_b32 v73, v50, v66
	s_wait_dscnt 0x8
	v_add_f32_e32 v38, v38, v76
	v_dual_cndmask_b32 v56, -v56, v56, s1 :: v_dual_cndmask_b32 v66, -v66, v66, s1
	v_dual_cndmask_b32 v39, -v39, v39, s1 :: v_dual_cndmask_b32 v57, -v57, v57, s1
	s_wait_dscnt 0x7
	v_dual_cndmask_b32 v51, -v51, v51, s1 :: v_dual_add_f32 v36, v36, v74
	ds_bpermute_b32 v74, v50, v34
	s_wait_dscnt 0x6
	v_add_f32_e32 v55, v55, v69
	ds_bpermute_b32 v69, v50, v59
	s_wait_dscnt 0x6
	v_add_f32_e32 v56, v56, v70
	ds_bpermute_b32 v70, v50, v52
	v_dual_cndmask_b32 v34, -v34, v34, s1 :: v_dual_cndmask_b32 v45, -v45, v45, s1
	ds_bpermute_b32 v77, v50, v47
	s_wait_dscnt 0x6
	v_dual_add_f32 v39, v39, v68 :: v_dual_add_f32 v57, v57, v71
	s_wait_dscnt 0x5
	v_add_f32_e32 v68, v51, v72
	v_dual_cndmask_b32 v51, -v59, v59, s1 :: v_dual_cndmask_b32 v52, -v52, v52, s1
	ds_bpermute_b32 v59, v50, v46
	ds_bpermute_b32 v71, v50, v60
	;; [unrolled: 1-line block ×3, first 2 shown]
	s_wait_dscnt 0x7
	v_add_f32_e32 v66, v66, v73
	ds_bpermute_b32 v73, v50, v65
	ds_bpermute_b32 v76, v50, v40
	v_dual_add_f32 v45, v45, v75 :: v_dual_cndmask_b32 v46, -v46, v46, s1
	v_dual_cndmask_b32 v58, -v58, v58, s1 :: v_dual_cndmask_b32 v40, -v40, v40, s1
	s_wait_dscnt 0x7
	v_dual_add_f32 v69, v51, v69 :: v_dual_cndmask_b32 v51, -v60, v60, s1
	v_dual_cndmask_b32 v47, -v47, v47, s1 :: v_dual_cndmask_b32 v65, -v65, v65, s1
	v_add_f32_e32 v34, v34, v74
	s_wait_dscnt 0x6
	v_add_f32_e32 v52, v52, v70
	ds_bpermute_b32 v60, v50, v42
	ds_bpermute_b32 v70, v50, v61
	v_cndmask_b32_e64 v42, -v42, v42, s1
	ds_bpermute_b32 v75, v50, v67
	s_wait_dscnt 0x7
	v_add_f32_e32 v46, v46, v59
	s_wait_dscnt 0x5
	v_dual_add_f32 v59, v51, v71 :: v_dual_add_f32 v58, v58, v72
	v_dual_add_f32 v47, v47, v77 :: v_dual_bitop2_b32 v51, 4, v63 bitop3:0x14
	s_wait_dscnt 0x4
	v_add_f32_e32 v65, v65, v73
	ds_bpermute_b32 v73, v50, v41
	ds_bpermute_b32 v71, v50, v64
	;; [unrolled: 1-line block ×3, first 2 shown]
	v_cmp_gt_i32_e64 s9, 32, v51
	v_cndmask_b32_e64 v61, -v61, v61, s1
	s_wait_dscnt 0x6
	v_dual_cndmask_b32 v41, -v41, v41, s1 :: v_dual_add_f32 v40, v40, v76
	v_dual_cndmask_b32 v67, -v67, v67, s1 :: v_dual_bitop2_b32 v76, 4, v0 bitop3:0x40
	s_wait_dscnt 0x5
	v_dual_cndmask_b32 v51, v63, v51, s9 :: v_dual_add_f32 v42, v42, v60
	s_wait_dscnt 0x4
	v_add_f32_e32 v60, v61, v70
	ds_bpermute_b32 v74, v50, v62
	ds_bpermute_b32 v61, v50, v53
	v_dual_lshlrev_b32 v51, 2, v51 :: v_dual_cndmask_b32 v64, -v64, v64, s1
	v_dual_cndmask_b32 v43, -v43, v43, s1 :: v_dual_cndmask_b32 v62, -v62, v62, s1
	v_cmp_eq_u32_e64 s9, 0, v76
	ds_bpermute_b32 v70, v51, v48
	s_wait_dscnt 0x5
	v_add_f32_e32 v41, v41, v73
	ds_bpermute_b32 v73, v51, v49
	s_wait_dscnt 0x4
	v_dual_add_f32 v64, v64, v71 :: v_dual_add_f32 v43, v43, v72
	ds_bpermute_b32 v71, v51, v54
	ds_bpermute_b32 v72, v51, v35
	v_dual_cndmask_b32 v48, -v48, v48, s9 :: v_dual_add_f32 v67, v67, v75
	v_cndmask_b32_e64 v49, -v49, v49, s9
	v_dual_cndmask_b32 v53, -v53, v53, s1 :: v_dual_cndmask_b32 v54, -v54, v54, s9
	s_wait_dscnt 0x5
	v_dual_cndmask_b32 v35, -v35, v35, s9 :: v_dual_add_f32 v62, v62, v74
	ds_bpermute_b32 v74, v51, v56
	s_wait_dscnt 0x5
	v_add_f32_e32 v53, v53, v61
	ds_bpermute_b32 v61, v51, v36
	v_cndmask_b32_e64 v36, -v36, v36, s9
	ds_bpermute_b32 v75, v51, v57
	ds_bpermute_b32 v76, v51, v37
	s_wait_dscnt 0x7
	v_add_f32_e32 v48, v48, v70
	ds_bpermute_b32 v70, v51, v38
	s_wait_dscnt 0x7
	v_add_f32_e32 v49, v49, v73
	ds_bpermute_b32 v73, v51, v55
	v_cndmask_b32_e64 v38, -v38, v38, s9
	s_wait_dscnt 0x6
	v_dual_add_f32 v54, v54, v71 :: v_dual_add_f32 v35, v35, v72
	ds_bpermute_b32 v72, v51, v39
	ds_bpermute_b32 v71, v51, v66
	v_cndmask_b32_e64 v55, -v55, v55, s9
	v_dual_cndmask_b32 v39, -v39, v39, s9 :: v_dual_cndmask_b32 v66, -v66, v66, s9
	v_cndmask_b32_e64 v57, -v57, v57, s9
	ds_bpermute_b32 v77, v51, v44
	v_dual_cndmask_b32 v37, -v37, v37, s9 :: v_dual_cndmask_b32 v44, -v44, v44, s9
	s_wait_dscnt 0x7
	v_add_f32_e32 v36, v36, v61
	ds_bpermute_b32 v61, v51, v68
	v_and_b32_e32 v78, 8, v0
	s_wait_dscnt 0x6
	v_add_f32_e32 v37, v37, v76
	ds_bpermute_b32 v76, v51, v65
	s_wait_dscnt 0x6
	v_dual_add_f32 v70, v38, v70 :: v_dual_cndmask_b32 v38, -v56, v56, s9
	ds_bpermute_b32 v56, v51, v34
	s_wait_dscnt 0x6
	v_add_f32_e32 v55, v55, v73
	ds_bpermute_b32 v73, v51, v45
	s_wait_dscnt 0x6
	v_dual_cndmask_b32 v34, -v34, v34, s9 :: v_dual_add_f32 v39, v39, v72
	v_add_f32_e32 v74, v38, v74
	ds_bpermute_b32 v38, v51, v69
	s_wait_dscnt 0x6
	v_add_f32_e32 v66, v66, v71
	ds_bpermute_b32 v71, v51, v52
	v_dual_cndmask_b32 v45, -v45, v45, s9 :: v_dual_cndmask_b32 v68, -v68, v68, s9
	v_add_f32_e32 v57, v57, v75
	ds_bpermute_b32 v72, v51, v40
	v_dual_cndmask_b32 v52, -v52, v52, s9 :: v_dual_cndmask_b32 v65, -v65, v65, s9
	s_wait_dscnt 0x6
	v_add_f32_e32 v61, v68, v61
	v_cndmask_b32_e64 v68, -v69, v69, s9
	ds_bpermute_b32 v69, v51, v59
	v_dual_cndmask_b32 v59, -v59, v59, s9 :: v_dual_cndmask_b32 v40, -v40, v40, s9
	s_wait_dscnt 0x5
	v_add_f32_e32 v34, v34, v56
	ds_bpermute_b32 v56, v51, v58
	s_wait_dscnt 0x5
	v_add_f32_e32 v45, v45, v73
	ds_bpermute_b32 v73, v51, v47
	v_dual_cndmask_b32 v58, -v58, v58, s9 :: v_dual_add_f32 v44, v44, v77
	s_wait_dscnt 0x5
	v_add_f32_e32 v68, v68, v38
	ds_bpermute_b32 v38, v51, v42
	s_wait_dscnt 0x5
	v_add_f32_e32 v52, v52, v71
	ds_bpermute_b32 v71, v51, v60
	ds_bpermute_b32 v77, v51, v46
	v_cndmask_b32_e64 v47, -v47, v47, s9
	ds_bpermute_b32 v75, v51, v41
	s_wait_dscnt 0x7
	v_dual_cndmask_b32 v42, -v42, v42, s9 :: v_dual_add_f32 v40, v40, v72
	ds_bpermute_b32 v72, v51, v43
	s_wait_dscnt 0x7
	v_dual_cndmask_b32 v46, -v46, v46, s9 :: v_dual_add_f32 v59, v59, v69
	ds_bpermute_b32 v69, v51, v64
	v_add_f32_e32 v65, v65, v76
	v_cndmask_b32_e64 v60, -v60, v60, s9
	s_wait_dscnt 0x7
	v_dual_add_f32 v56, v58, v56 :: v_dual_bitop2_b32 v58, 8, v63 bitop3:0x14
	s_wait_dscnt 0x6
	v_add_f32_e32 v47, v47, v73
	ds_bpermute_b32 v73, v51, v62
	ds_bpermute_b32 v76, v51, v67
	s_wait_dscnt 0x7
	v_dual_cndmask_b32 v41, -v41, v41, s9 :: v_dual_add_f32 v42, v42, v38
	v_cmp_gt_i32_e64 s10, 32, v58
	s_wait_dscnt 0x6
	v_add_f32_e32 v60, v60, v71
	v_dual_cndmask_b32 v64, -v64, v64, s9 :: v_dual_cndmask_b32 v43, -v43, v43, s9
	v_cndmask_b32_e64 v62, -v62, v62, s9
	s_wait_dscnt 0x5
	v_dual_cndmask_b32 v58, v63, v58, s10 :: v_dual_add_f32 v46, v46, v77
	s_wait_dscnt 0x4
	v_add_f32_e32 v41, v41, v75
	v_cndmask_b32_e64 v67, -v67, v67, s9
	s_wait_dscnt 0x3
	v_dual_add_f32 v72, v43, v72 :: v_dual_lshlrev_b32 v38, 2, v58
	ds_bpermute_b32 v58, v51, v53
	s_wait_dscnt 0x3
	v_add_f32_e32 v64, v64, v69
	v_cndmask_b32_e64 v43, -v53, v53, s9
	v_cmp_eq_u32_e64 s10, 0, v78
	ds_bpermute_b32 v71, v38, v48
	ds_bpermute_b32 v69, v38, v49
	;; [unrolled: 1-line block ×5, first 2 shown]
	s_wait_dscnt 0x7
	v_dual_add_f32 v62, v62, v73 :: v_dual_cndmask_b32 v48, -v48, v48, s10
	s_wait_dscnt 0x6
	v_dual_add_f32 v73, v67, v76 :: v_dual_cndmask_b32 v49, -v49, v49, s10
	ds_bpermute_b32 v67, v38, v70
	v_dual_cndmask_b32 v35, -v35, v35, s10 :: v_dual_cndmask_b32 v54, -v54, v54, s10
	v_cndmask_b32_e64 v37, -v37, v37, s10
	ds_bpermute_b32 v78, v38, v61
	s_barrier_signal -1
	s_barrier_wait -1
	s_wait_dscnt 0x7
	v_add_f32_e32 v76, v43, v58
	ds_bpermute_b32 v43, v38, v44
	ds_bpermute_b32 v58, v38, v36
	v_cndmask_b32_e64 v36, -v36, v36, s10
	s_wait_dscnt 0x8
	v_add_f32_e32 v48, v48, v71
	ds_bpermute_b32 v71, v38, v55
	s_wait_dscnt 0x8
	v_add_f32_e32 v49, v49, v69
	s_wait_dscnt 0x7
	v_dual_add_f32 v69, v35, v77 :: v_dual_cndmask_b32 v35, -v44, v44, s10
	ds_bpermute_b32 v44, v38, v74
	s_wait_dscnt 0x6
	v_dual_add_f32 v54, v54, v75 :: v_dual_add_f32 v37, v37, v53
	ds_bpermute_b32 v53, v38, v66
	ds_bpermute_b32 v75, v38, v39
	v_cndmask_b32_e64 v70, -v70, v70, s10
	ds_bpermute_b32 v77, v38, v57
	v_dual_cndmask_b32 v66, -v66, v66, s10 :: v_dual_cndmask_b32 v39, -v39, v39, s10
	s_wait_dscnt 0x0
	s_wait_kmcnt 0x0
	s_mov_b32 s13, s12
	v_add_f32_e32 v43, v35, v43
	v_dual_cndmask_b32 v35, -v55, v55, s10 :: v_dual_add_f32 v55, v36, v58
	v_cndmask_b32_e64 v36, -v74, v74, s10
	v_add_f32_e32 v58, v70, v67
	ds_bpermute_b32 v67, v38, v34
	v_add_f32_e32 v70, v35, v71
	ds_bpermute_b32 v35, v38, v45
	ds_bpermute_b32 v71, v38, v68
	ds_bpermute_b32 v74, v38, v52
	v_dual_add_f32 v44, v36, v44 :: v_dual_cndmask_b32 v36, -v57, v57, s10
	v_dual_cndmask_b32 v57, -v61, v61, s10 :: v_dual_cndmask_b32 v34, -v34, v34, s10
	v_dual_add_f32 v53, v66, v53 :: v_dual_add_f32 v61, v39, v75
	s_delay_alu instid0(VALU_DEP_3)
	v_add_f32_e32 v66, v36, v77
	ds_bpermute_b32 v36, v38, v65
	v_dual_cndmask_b32 v39, -v45, v45, s10 :: v_dual_cndmask_b32 v68, -v68, v68, s10
	ds_bpermute_b32 v45, v38, v46
	ds_bpermute_b32 v75, v38, v59
	v_dual_cndmask_b32 v65, -v65, v65, s10 :: v_dual_cndmask_b32 v59, -v59, v59, s10
	s_wait_dscnt 0x6
	v_dual_add_f32 v57, v57, v78 :: v_dual_add_f32 v67, v34, v67
	s_wait_dscnt 0x5
	v_dual_cndmask_b32 v34, -v52, v52, s10 :: v_dual_add_f32 v52, v39, v35
	v_xor_b32_e32 v39, 16, v63
	ds_bpermute_b32 v35, v38, v56
	s_wait_dscnt 0x4
	v_dual_add_f32 v68, v68, v71 :: v_dual_add_f32 v71, v34, v74
	ds_bpermute_b32 v34, v38, v40
	v_cmp_gt_i32_e64 s11, 32, v39
	v_dual_cndmask_b32 v46, -v46, v46, s10 :: v_dual_cndmask_b32 v56, -v56, v56, s10
	ds_bpermute_b32 v78, v38, v60
	s_wait_dscnt 0x5
	v_dual_cndmask_b32 v39, v63, v39, s11 :: v_dual_add_f32 v65, v65, v36
	ds_bpermute_b32 v63, v38, v47
	s_wait_dscnt 0x4
	v_dual_add_f32 v74, v46, v45 :: v_dual_add_f32 v75, v59, v75
	v_dual_lshlrev_b32 v39, 2, v39 :: v_dual_cndmask_b32 v36, -v40, v40, s10
	ds_bpermute_b32 v40, v38, v42
	v_and_b32_e32 v46, 16, v0
	ds_bpermute_b32 v45, v39, v48
	ds_bpermute_b32 v59, v39, v49
	;; [unrolled: 1-line block ×3, first 2 shown]
	s_wait_dscnt 0x7
	v_add_f32_e32 v79, v56, v35
	v_cmp_eq_u32_e64 s11, 0, v46
	s_wait_dscnt 0x6
	v_dual_add_f32 v80, v36, v34 :: v_dual_cndmask_b32 v34, -v47, v47, s10
	v_cndmask_b32_e64 v35, -v42, v42, s10
	ds_bpermute_b32 v47, v39, v69
	v_dual_cndmask_b32 v36, -v48, v48, s11 :: v_dual_cndmask_b32 v46, -v54, v54, s11
	v_cndmask_b32_e64 v56, -v60, v60, s10
	ds_bpermute_b32 v48, v39, v37
	ds_bpermute_b32 v54, v39, v55
	v_cndmask_b32_e64 v42, -v49, v49, s11
	ds_bpermute_b32 v49, v39, v43
	s_wait_dscnt 0x7
	v_dual_add_f32 v81, v34, v63 :: v_dual_add_f32 v82, v35, v40
	ds_bpermute_b32 v60, v38, v41
	v_dual_cndmask_b32 v40, -v69, v69, s11 :: v_dual_cndmask_b32 v43, -v43, v43, s11
	s_wait_dscnt 0x6
	v_dual_add_f32 v34, v36, v45 :: v_dual_add_f32 v35, v42, v59
	s_wait_dscnt 0x5
	v_dual_add_f32 v36, v46, v77 :: v_dual_add_f32 v77, v56, v78
	v_dual_cndmask_b32 v42, -v37, v37, s11 :: v_dual_cndmask_b32 v46, -v55, v55, s11
	ds_bpermute_b32 v45, v39, v58
	ds_bpermute_b32 v55, v39, v70
	;; [unrolled: 1-line block ×5, first 2 shown]
	s_wait_dscnt 0x9
	v_dual_cndmask_b32 v63, -v41, v41, s10 :: v_dual_add_f32 v37, v40, v47
	s_wait_dscnt 0x6
	v_dual_add_f32 v40, v42, v48 :: v_dual_add_f32 v41, v43, v49
	v_add_f32_e32 v42, v46, v54
	v_dual_cndmask_b32 v46, -v70, v70, s11 :: v_dual_cndmask_b32 v48, -v53, v53, s11
	ds_bpermute_b32 v53, v39, v66
	v_dual_cndmask_b32 v43, -v58, v58, s11 :: v_dual_cndmask_b32 v47, -v44, v44, s11
	ds_bpermute_b32 v49, v39, v61
	v_cndmask_b32_e64 v54, -v64, v64, s10
	s_wait_dscnt 0x7
	v_add_f32_e32 v78, v63, v60
	ds_bpermute_b32 v58, v39, v57
	ds_bpermute_b32 v60, v39, v67
	s_wait_dscnt 0x7
	v_dual_add_f32 v43, v43, v45 :: v_dual_add_f32 v44, v46, v55
	s_wait_dscnt 0x6
	v_add_f32_e32 v46, v48, v59
	ds_bpermute_b32 v48, v38, v72
	s_wait_dscnt 0x5
	v_dual_add_f32 v45, v47, v56 :: v_dual_add_f32 v83, v54, v69
	v_dual_cndmask_b32 v47, -v61, v61, s11 :: v_dual_cndmask_b32 v54, -v66, v66, s11
	v_dual_cndmask_b32 v55, -v57, v57, s11 :: v_dual_cndmask_b32 v56, -v67, v67, s11
	ds_bpermute_b32 v57, v39, v52
	ds_bpermute_b32 v59, v39, v68
	;; [unrolled: 1-line block ×5, first 2 shown]
	s_wait_dscnt 0x9
	v_add_f32_e32 v54, v54, v53
	ds_bpermute_b32 v53, v39, v74
	ds_bpermute_b32 v66, v39, v75
	;; [unrolled: 1-line block ×4, first 2 shown]
	s_wait_dscnt 0xa
	v_dual_add_f32 v47, v47, v49 :: v_dual_add_f32 v56, v56, v60
	v_dual_cndmask_b32 v49, -v72, v72, s10 :: v_dual_cndmask_b32 v62, -v62, v62, s10
	v_dual_add_f32 v55, v55, v58 :: v_dual_cndmask_b32 v60, -v65, v65, s11
	ds_bpermute_b32 v65, v38, v73
	s_wait_dscnt 0xa
	v_add_f32_e32 v84, v49, v48
	v_cndmask_b32_e64 v48, -v52, v52, s11
	v_dual_cndmask_b32 v49, -v68, v68, s11 :: v_dual_cndmask_b32 v52, -v71, v71, s11
	ds_bpermute_b32 v72, v39, v81
	s_wait_dscnt 0x7
	v_dual_add_f32 v57, v48, v57 :: v_dual_add_f32 v85, v62, v64
	v_dual_cndmask_b32 v48, -v74, v74, s11 :: v_dual_add_f32 v58, v49, v59
	v_dual_add_f32 v59, v52, v61 :: v_dual_cndmask_b32 v49, -v75, v75, s11
	v_dual_cndmask_b32 v64, -v80, v80, s11 :: v_dual_cndmask_b32 v52, -v79, v79, s11
	s_wait_dscnt 0x5
	s_delay_alu instid0(VALU_DEP_3)
	v_add_f32_e32 v61, v48, v53
	s_wait_dscnt 0x4
	v_dual_add_f32 v60, v60, v63 :: v_dual_add_f32 v62, v49, v66
	v_pk_add_f32 v[48:49], v[28:29], v[26:27]
	s_wait_dscnt 0x3
	v_add_f32_e32 v63, v52, v67
	v_pk_add_f32 v[52:53], v[32:33], v[30:31]
	v_pk_add_f32 v[66:67], v[26:27], v[28:29] neg_lo:[0,1] neg_hi:[0,1]
	s_wait_dscnt 0x2
	v_add_f32_e32 v64, v64, v69
	v_pk_add_f32 v[68:69], v[30:31], v[32:33] neg_lo:[0,1] neg_hi:[0,1]
	ds_bpermute_b32 v30, v38, v76
	v_dual_sub_f32 v32, v48, v52 :: v_dual_cndmask_b32 v33, -v73, v73, s10
	v_dual_sub_f32 v31, v49, v53 :: v_dual_sub_f32 v70, v66, v68
	v_dual_sub_f32 v71, v67, v69 :: v_dual_cndmask_b32 v73, -v82, v82, s11
	ds_bpermute_b32 v74, v39, v82
	ds_bpermute_b32 v26, v1, v32
	;; [unrolled: 1-line block ×7, first 2 shown]
	s_wait_dscnt 0x9
	v_dual_add_f32 v80, v33, v65 :: v_dual_cndmask_b32 v33, -v76, v76, s10
	v_dual_cndmask_b32 v65, -v81, v81, s11 :: v_dual_cndmask_b32 v76, -v78, v78, s11
	v_dual_cndmask_b32 v77, -v77, v77, s11 :: v_dual_cndmask_b32 v31, -v31, v31, s0
	s_wait_dscnt 0x7
	s_delay_alu instid0(VALU_DEP_3)
	v_dual_add_f32 v86, v33, v30 :: v_dual_cndmask_b32 v30, -v32, v32, s0
	v_dual_cndmask_b32 v33, -v71, v71, s0 :: v_dual_cndmask_b32 v32, -v70, v70, s0
	ds_bpermute_b32 v78, v39, v83
	v_add_f32_e32 v65, v65, v72
	ds_bpermute_b32 v81, v39, v84
	ds_bpermute_b32 v87, v39, v80
	v_pk_add_f32 v[48:49], v[52:53], v[48:49]
	s_wait_dscnt 0x7
	v_pk_add_f32 v[70:71], v[30:31], v[26:27]
	v_add_f32_e32 v26, v73, v74
	s_wait_dscnt 0x5
	v_pk_add_f32 v[72:73], v[32:33], v[28:29]
	s_wait_dscnt 0x4
	v_dual_add_f32 v27, v77, v75 :: v_dual_cndmask_b32 v30, -v84, v84, s11
	ds_bpermute_b32 v74, v50, v70
	ds_bpermute_b32 v75, v50, v71
	s_wait_dscnt 0x5
	v_add_f32_e32 v28, v76, v79
	ds_bpermute_b32 v76, v50, v72
	ds_bpermute_b32 v77, v50, v73
	v_cndmask_b32_e64 v29, -v83, v83, s11
	v_dual_cndmask_b32 v71, -v71, v71, s1 :: v_dual_cndmask_b32 v70, -v70, v70, s1
	v_dual_cndmask_b32 v73, -v73, v73, s1 :: v_dual_lshrrev_b32 v79, 5, v0
	s_wait_dscnt 0x6
	s_delay_alu instid0(VALU_DEP_3) | instskip(SKIP_3) | instid1(VALU_DEP_3)
	v_dual_add_f32 v29, v29, v78 :: v_dual_bitop2_b32 v78, 7, v0 bitop3:0x40
	v_dual_cndmask_b32 v72, -v72, v72, s1 :: v_dual_cndmask_b32 v31, -v85, v85, s11
	s_wait_dscnt 0x5
	v_dual_cndmask_b32 v32, -v80, v80, s11 :: v_dual_add_f32 v30, v30, v81
	v_dual_lshrrev_b32 v80, 3, v0 :: v_dual_lshlrev_b32 v81, 5, v78
	v_pk_add_f32 v[66:67], v[68:69], v[66:67]
	ds_bpermute_b32 v82, v39, v85
	ds_bpermute_b32 v88, v39, v86
	s_wait_dscnt 0x4
	v_pk_add_f32 v[70:71], v[70:71], v[74:75]
	v_bitop3_b32 v80, v81, v78, v80 bitop3:0x36
	ds_bpermute_b32 v78, v1, v66
	s_wait_dscnt 0x3
	v_pk_add_f32 v[72:73], v[72:73], v[76:77]
	v_xor_b32_e32 v76, v79, v0
	ds_bpermute_b32 v74, v51, v70
	ds_bpermute_b32 v75, v51, v71
	;; [unrolled: 1-line block ×3, first 2 shown]
	v_cndmask_b32_e64 v70, -v70, v70, s9
	v_lshl_add_u32 v52, v76, 4, 0
	ds_bpermute_b32 v76, v1, v48
	ds_bpermute_b32 v79, v1, v67
	;; [unrolled: 1-line block ×4, first 2 shown]
	v_dual_cndmask_b32 v71, -v71, v71, s9 :: v_dual_cndmask_b32 v73, -v73, v73, s9
	v_dual_cndmask_b32 v72, -v72, v72, s9 :: v_dual_cndmask_b32 v49, -v49, v49, s0
	;; [unrolled: 1-line block ×3, first 2 shown]
	v_dual_cndmask_b32 v33, -v86, v86, s11 :: v_dual_add_f32 v32, v32, v87
	ds_store_b128 v52, v[34:37]
	ds_store_b128 v52, v[40:43] offset:4096
	s_wait_dscnt 0xb
	v_add_f32_e32 v31, v31, v82
	v_lshl_add_u32 v53, v80, 4, 0
	s_wait_dscnt 0xa
	v_add_f32_e32 v33, v33, v88
	s_wait_dscnt 0x7
	v_pk_add_f32 v[70:71], v[70:71], v[74:75]
	v_cndmask_b32_e64 v66, -v66, v66, s0
	ds_store_b128 v52, v[44:47] offset:8192
	ds_store_b128 v52, v[54:57] offset:12288
	;; [unrolled: 1-line block ×6, first 2 shown]
	s_wait_dscnt 0x0
	v_pk_add_f32 v[36:37], v[48:49], v[76:77]
	v_cndmask_b32_e64 v27, -v71, v71, s10
	v_pk_add_f32 v[42:43], v[66:67], v[78:79]
	v_pk_add_f32 v[34:35], v[72:73], v[68:69]
	ds_bpermute_b32 v40, v38, v70
	ds_bpermute_b32 v66, v50, v36
	;; [unrolled: 1-line block ×6, first 2 shown]
	v_dual_cndmask_b32 v29, -v35, v35, s10 :: v_dual_cndmask_b32 v31, -v37, v37, s1
	v_dual_cndmask_b32 v30, -v36, v36, s1 :: v_dual_cndmask_b32 v33, -v43, v43, s1
	ds_bpermute_b32 v48, v38, v34
	ds_bpermute_b32 v49, v38, v35
	s_barrier_signal -1
	s_barrier_wait -1
	s_wait_dscnt 0x0
	v_pk_add_f32 v[30:31], v[30:31], v[66:67]
	v_cndmask_b32_e64 v32, -v42, v42, s1
	v_pk_add_f32 v[42:43], v[24:25], v[8:9]
	v_pk_add_f32 v[8:9], v[8:9], v[24:25] neg_lo:[0,1] neg_hi:[0,1]
	ds_bpermute_b32 v35, v51, v31
	v_cndmask_b32_e64 v31, -v31, v31, s9
	v_pk_add_f32 v[32:33], v[32:33], v[68:69]
	v_cndmask_b32_e64 v26, -v70, v70, s10
	ds_bpermute_b32 v36, v51, v32
	ds_bpermute_b32 v37, v51, v33
	v_pk_add_f32 v[26:27], v[26:27], v[40:41]
	v_pk_add_f32 v[40:41], v[4:5], v[2:3]
	v_cndmask_b32_e64 v28, -v34, v34, s10
	ds_bpermute_b32 v34, v51, v30
	v_cndmask_b32_e64 v30, -v30, v30, s9
	ds_bpermute_b32 v44, v39, v26
	v_sub_f32_e32 v54, v41, v43
	v_pk_add_f32 v[28:29], v[28:29], v[48:49]
	v_pk_add_f32 v[48:49], v[2:3], v[4:5] neg_lo:[0,1] neg_hi:[0,1]
	v_dual_sub_f32 v45, v40, v42 :: v_dual_cndmask_b32 v5, -v33, v33, s9
	v_cndmask_b32_e64 v4, -v32, v32, s9
	ds_bpermute_b32 v3, v1, v54
	v_dual_sub_f32 v55, v48, v8 :: v_dual_sub_f32 v56, v49, v9
	ds_bpermute_b32 v2, v1, v45
	ds_bpermute_b32 v46, v39, v28
	;; [unrolled: 1-line block ×3, first 2 shown]
	v_dual_cndmask_b32 v29, -v29, v29, s11 :: v_dual_cndmask_b32 v28, -v28, v28, s11
	s_wait_dscnt 0x6
	v_pk_add_f32 v[4:5], v[4:5], v[36:37]
	v_dual_cndmask_b32 v37, -v54, v54, s0 :: v_dual_cndmask_b32 v36, -v45, v45, s0
	s_wait_dscnt 0x5
	v_pk_add_f32 v[24:25], v[30:31], v[34:35]
	ds_bpermute_b32 v30, v1, v55
	ds_bpermute_b32 v31, v1, v56
	;; [unrolled: 1-line block ×7, first 2 shown]
	v_dual_cndmask_b32 v27, -v27, v27, s11 :: v_dual_cndmask_b32 v57, -v5, v5, s10
	v_pk_add_f32 v[40:41], v[42:43], v[40:41]
	v_pk_add_f32 v[42:43], v[8:9], v[48:49]
	s_wait_dscnt 0x9
	v_pk_add_f32 v[36:37], v[36:37], v[2:3]
	v_dual_cndmask_b32 v3, -v25, v25, s10 :: v_dual_cndmask_b32 v2, -v24, v24, s10
	v_dual_cndmask_b32 v25, -v56, v56, s0 :: v_dual_cndmask_b32 v24, -v55, v55, s0
	v_cndmask_b32_e64 v56, -v4, v4, s10
	ds_bpermute_b32 v54, v50, v36
	ds_bpermute_b32 v55, v50, v37
	v_dual_cndmask_b32 v26, -v26, v26, s11 :: v_dual_cndmask_b32 v37, -v37, v37, s1
	s_wait_dscnt 0x7
	v_pk_add_f32 v[24:25], v[24:25], v[30:31]
	v_pk_add_f32 v[4:5], v[28:29], v[46:47]
	s_wait_dscnt 0x5
	v_pk_add_f32 v[30:31], v[56:57], v[34:35]
	ds_bpermute_b32 v46, v1, v42
	s_wait_dscnt 0x4
	v_pk_add_f32 v[28:29], v[2:3], v[32:33]
	ds_bpermute_b32 v32, v50, v24
	ds_bpermute_b32 v33, v50, v25
	;; [unrolled: 1-line block ×4, first 2 shown]
	s_wait_dscnt 0x7
	v_pk_add_f32 v[2:3], v[26:27], v[44:45]
	ds_bpermute_b32 v44, v1, v40
	ds_bpermute_b32 v45, v1, v41
	;; [unrolled: 1-line block ×3, first 2 shown]
	v_dual_cndmask_b32 v36, -v36, v36, s1 :: v_dual_cndmask_b32 v25, -v25, v25, s1
	v_dual_cndmask_b32 v24, -v24, v24, s1 :: v_dual_cndmask_b32 v9, -v31, v31, s11
	v_cndmask_b32_e64 v8, -v30, v30, s11
	ds_bpermute_b32 v26, v39, v28
	s_wait_dscnt 0x9
	v_pk_add_f32 v[36:37], v[36:37], v[54:55]
	ds_bpermute_b32 v27, v39, v29
	v_dual_cndmask_b32 v29, -v29, v29, s11 :: v_dual_cndmask_b32 v28, -v28, v28, s11
	ds_bpermute_b32 v49, v51, v37
	v_cndmask_b32_e64 v37, -v37, v37, s9
	s_wait_dscnt 0x8
	v_pk_add_f32 v[24:25], v[24:25], v[32:33]
	v_cndmask_b32_e64 v33, -v41, v41, s0
	s_wait_dscnt 0x6
	v_pk_add_f32 v[8:9], v[8:9], v[34:35]
	v_dual_cndmask_b32 v32, -v40, v40, s0 :: v_dual_cndmask_b32 v35, -v43, v43, s0
	v_cndmask_b32_e64 v34, -v42, v42, s0
	ds_bpermute_b32 v30, v51, v24
	ds_bpermute_b32 v31, v51, v25
	s_wait_dscnt 0x6
	v_pk_add_f32 v[32:33], v[32:33], v[44:45]
	v_pk_add_f32 v[44:45], v[18:19], v[6:7]
	s_wait_dscnt 0x5
	v_pk_add_f32 v[34:35], v[34:35], v[46:47]
	v_pk_add_f32 v[46:47], v[22:23], v[20:21]
	v_pk_add_f32 v[18:19], v[6:7], v[18:19] neg_lo:[0,1] neg_hi:[0,1]
	ds_bpermute_b32 v40, v50, v32
	ds_bpermute_b32 v41, v50, v33
	ds_bpermute_b32 v42, v50, v34
	ds_bpermute_b32 v43, v50, v35
	v_pk_add_f32 v[20:21], v[20:21], v[22:23] neg_lo:[0,1] neg_hi:[0,1]
	ds_bpermute_b32 v48, v51, v36
	v_dual_cndmask_b32 v32, -v32, v32, s1 :: v_dual_sub_f32 v55, v45, v47
	v_dual_sub_f32 v54, v44, v46 :: v_dual_cndmask_b32 v7, -v35, v35, s1
	v_dual_sub_f32 v56, v18, v20 :: v_dual_sub_f32 v57, v19, v21
	v_dual_cndmask_b32 v6, -v34, v34, s1 :: v_dual_cndmask_b32 v36, -v36, v36, s9
	v_cndmask_b32_e64 v25, -v25, v25, s9
	ds_bpermute_b32 v34, v1, v56
	ds_bpermute_b32 v35, v1, v57
	v_dual_cndmask_b32 v24, -v24, v24, s9 :: v_dual_cndmask_b32 v33, -v33, v33, s1
	ds_bpermute_b32 v22, v1, v54
	ds_bpermute_b32 v23, v1, v55
	v_cndmask_b32_e64 v55, -v55, v55, s0
	s_wait_dscnt 0x9
	v_pk_add_f32 v[24:25], v[24:25], v[30:31]
	s_wait_dscnt 0x7
	v_pk_add_f32 v[30:31], v[32:33], v[40:41]
	;; [unrolled: 2-line block ×4, first 2 shown]
	v_dual_cndmask_b32 v54, -v54, v54, s0 :: v_dual_cndmask_b32 v57, -v57, v57, s0
	ds_bpermute_b32 v42, v51, v30
	ds_bpermute_b32 v43, v51, v31
	;; [unrolled: 1-line block ×4, first 2 shown]
	v_cndmask_b32_e64 v56, -v56, v56, s0
	ds_bpermute_b32 v32, v38, v36
	ds_bpermute_b32 v33, v38, v37
	v_dual_cndmask_b32 v37, -v37, v37, s10 :: v_dual_cndmask_b32 v31, -v31, v31, s9
	v_cndmask_b32_e64 v30, -v30, v30, s9
	s_wait_dscnt 0x8
	v_pk_add_f32 v[34:35], v[56:57], v[34:35]
	v_dual_cndmask_b32 v7, -v7, v7, s9 :: v_dual_cndmask_b32 v6, -v6, v6, s9
	s_wait_dscnt 0x6
	v_pk_add_f32 v[22:23], v[54:55], v[22:23]
	v_cndmask_b32_e64 v36, -v36, v36, s10
	ds_bpermute_b32 v56, v50, v34
	ds_bpermute_b32 v57, v50, v35
	v_cndmask_b32_e64 v35, -v35, v35, s1
	ds_bpermute_b32 v54, v50, v22
	ds_bpermute_b32 v55, v50, v23
	v_cndmask_b32_e64 v23, -v23, v23, s1
	s_wait_dscnt 0x8
	v_pk_add_f32 v[30:31], v[30:31], v[42:43]
	v_cndmask_b32_e64 v22, -v22, v22, s1
	s_wait_dscnt 0x6
	v_pk_add_f32 v[42:43], v[6:7], v[48:49]
	v_pk_add_f32 v[6:7], v[28:29], v[26:27]
	ds_bpermute_b32 v40, v38, v24
	s_wait_dscnt 0x5
	v_pk_add_f32 v[26:27], v[36:37], v[32:33]
	v_cndmask_b32_e64 v34, -v34, v34, s1
	ds_bpermute_b32 v32, v38, v42
	ds_bpermute_b32 v33, v38, v43
	;; [unrolled: 1-line block ×5, first 2 shown]
	v_cndmask_b32_e64 v27, -v27, v27, s11
	ds_bpermute_b32 v41, v38, v25
	v_dual_cndmask_b32 v43, -v43, v43, s10 :: v_dual_cndmask_b32 v42, -v42, v42, s10
	s_wait_dscnt 0x9
	v_pk_add_f32 v[34:35], v[34:35], v[56:57]
	v_dual_cndmask_b32 v31, -v31, v31, s10 :: v_dual_cndmask_b32 v30, -v30, v30, s10
	s_wait_dscnt 0x7
	v_pk_add_f32 v[22:23], v[22:23], v[54:55]
	v_dual_cndmask_b32 v25, -v25, v25, s10 :: v_dual_cndmask_b32 v24, -v24, v24, s10
	ds_bpermute_b32 v54, v51, v34
	ds_bpermute_b32 v55, v51, v35
	;; [unrolled: 1-line block ×5, first 2 shown]
	v_dual_cndmask_b32 v22, -v22, v22, s9 :: v_dual_cndmask_b32 v35, -v35, v35, s9
	s_wait_dscnt 0x9
	v_pk_add_f32 v[32:33], v[42:43], v[32:33]
	s_wait_dscnt 0x7
	v_pk_add_f32 v[28:29], v[30:31], v[28:29]
	v_cndmask_b32_e64 v34, -v34, v34, s9
	v_pk_add_f32 v[44:45], v[46:47], v[44:45]
	s_wait_dscnt 0x5
	v_pk_add_f32 v[24:25], v[24:25], v[40:41]
	ds_bpermute_b32 v30, v39, v32
	ds_bpermute_b32 v31, v39, v33
	v_dual_cndmask_b32 v33, -v33, v33, s11 :: v_dual_cndmask_b32 v23, -v23, v23, s9
	ds_bpermute_b32 v40, v39, v24
	v_cndmask_b32_e64 v24, -v24, v24, s11
	v_pk_add_f32 v[18:19], v[20:21], v[18:19]
	v_dual_cndmask_b32 v26, -v26, v26, s11 :: v_dual_cndmask_b32 v32, -v32, v32, s11
	s_wait_dscnt 0x6
	v_pk_add_f32 v[34:35], v[34:35], v[54:55]
	ds_bpermute_b32 v54, v1, v44
	ds_bpermute_b32 v55, v1, v45
	s_wait_dscnt 0x6
	v_pk_add_f32 v[42:43], v[22:23], v[48:49]
	ds_bpermute_b32 v48, v39, v28
	ds_bpermute_b32 v20, v38, v34
	;; [unrolled: 1-line block ×5, first 2 shown]
	v_cndmask_b32_e64 v25, -v25, v25, s11
	ds_bpermute_b32 v56, v1, v18
	ds_bpermute_b32 v57, v1, v19
	s_wait_dscnt 0xc
	v_pk_add_f32 v[22:23], v[26:27], v[36:37]
	v_cndmask_b32_e64 v27, -v29, v29, s11
	s_wait_dscnt 0xa
	v_pk_add_f32 v[32:33], v[32:33], v[30:31]
	v_dual_cndmask_b32 v31, -v45, v45, s0 :: v_dual_cndmask_b32 v30, -v44, v44, s0
	v_dual_cndmask_b32 v26, -v28, v28, s11 :: v_dual_cndmask_b32 v29, -v43, v43, s10
	;; [unrolled: 1-line block ×3, first 2 shown]
	ds_bpermute_b32 v46, v38, v42
	s_wait_dscnt 0x8
	v_pk_add_f32 v[36:37], v[30:31], v[54:55]
	v_cndmask_b32_e64 v34, -v34, v34, s10
	ds_bpermute_b32 v47, v38, v43
	v_pk_add_f32 v[42:43], v[12:13], v[10:11]
	v_pk_add_f32 v[44:45], v[16:17], v[14:15]
	v_pk_add_f32 v[10:11], v[10:11], v[12:13] neg_lo:[0,1] neg_hi:[0,1]
	v_pk_add_f32 v[12:13], v[14:15], v[16:17] neg_lo:[0,1] neg_hi:[0,1]
	v_cndmask_b32_e64 v15, -v37, v37, s1
	s_wait_dscnt 0x6
	v_pk_add_f32 v[20:21], v[34:35], v[20:21]
	ds_bpermute_b32 v34, v50, v36
	ds_bpermute_b32 v35, v50, v37
	v_dual_cndmask_b32 v19, -v19, v19, s0 :: v_dual_cndmask_b32 v18, -v18, v18, s0
	s_wait_dscnt 0x7
	v_pk_add_f32 v[30:31], v[26:27], v[48:49]
	v_dual_sub_f32 v48, v42, v44 :: v_dual_sub_f32 v49, v43, v45
	v_dual_cndmask_b32 v14, -v36, v36, s1 :: v_dual_sub_f32 v54, v11, v13
	s_wait_dscnt 0x4
	v_pk_add_f32 v[18:19], v[18:19], v[56:57]
	v_sub_f32_e32 v56, v10, v12
	ds_bpermute_b32 v16, v1, v48
	ds_bpermute_b32 v17, v1, v49
	v_pk_add_f32 v[24:25], v[24:25], v[40:41]
	ds_bpermute_b32 v40, v50, v18
	ds_bpermute_b32 v41, v50, v19
	v_cndmask_b32_e64 v19, -v19, v19, s1
	ds_bpermute_b32 v36, v1, v56
	ds_bpermute_b32 v37, v1, v54
	v_dual_cndmask_b32 v49, -v49, v49, s0 :: v_dual_cndmask_b32 v48, -v48, v48, s0
	s_wait_dscnt 0x6
	v_pk_add_f32 v[14:15], v[14:15], v[34:35]
	ds_bpermute_b32 v34, v39, v20
	ds_bpermute_b32 v35, v39, v21
	v_pk_add_f32 v[28:29], v[28:29], v[46:47]
	v_cndmask_b32_e64 v18, -v18, v18, s1
	v_dual_cndmask_b32 v55, -v54, v54, s0 :: v_dual_cndmask_b32 v54, -v56, v56, s0
	v_cndmask_b32_e64 v21, -v21, v21, s11
	ds_bpermute_b32 v26, v39, v28
	ds_bpermute_b32 v27, v39, v29
	v_cndmask_b32_e64 v29, -v29, v29, s11
	s_wait_dscnt 0x8
	v_pk_add_f32 v[16:17], v[48:49], v[16:17]
	v_cndmask_b32_e64 v28, -v28, v28, s11
	v_cndmask_b32_e64 v20, -v20, v20, s11
	s_wait_dscnt 0x6
	v_pk_add_f32 v[18:19], v[18:19], v[40:41]
	ds_bpermute_b32 v40, v51, v14
	ds_bpermute_b32 v41, v51, v15
	s_wait_dscnt 0x6
	v_pk_add_f32 v[48:49], v[54:55], v[36:37]
	ds_bpermute_b32 v54, v50, v16
	ds_bpermute_b32 v55, v50, v17
	ds_bpermute_b32 v46, v51, v18
	ds_bpermute_b32 v47, v51, v19
	v_cndmask_b32_e64 v15, -v15, v15, s9
	s_wait_dscnt 0x8
	v_pk_add_f32 v[36:37], v[20:21], v[34:35]
	v_pk_add_f32 v[20:21], v[44:45], v[42:43]
	ds_bpermute_b32 v56, v50, v48
	ds_bpermute_b32 v57, v50, v49
	v_pk_add_f32 v[10:11], v[12:13], v[10:11]
	v_dual_cndmask_b32 v14, -v14, v14, s9 :: v_dual_cndmask_b32 v19, -v19, v19, s9
	ds_bpermute_b32 v12, v1, v20
	ds_bpermute_b32 v13, v1, v21
	v_dual_cndmask_b32 v18, -v18, v18, s9 :: v_dual_cndmask_b32 v17, -v17, v17, s1
	v_cndmask_b32_e64 v16, -v16, v16, s1
	s_wait_dscnt 0xa
	v_pk_add_f32 v[34:35], v[28:29], v[26:27]
	s_wait_dscnt 0x8
	v_pk_add_f32 v[14:15], v[14:15], v[40:41]
	ds_bpermute_b32 v28, v1, v10
	ds_bpermute_b32 v29, v1, v11
	v_cndmask_b32_e64 v41, -v49, v49, s1
	s_wait_dscnt 0x8
	v_pk_add_f32 v[16:17], v[16:17], v[54:55]
	s_wait_dscnt 0x6
	v_pk_add_f32 v[18:19], v[18:19], v[46:47]
	ds_bpermute_b32 v26, v38, v14
	v_dual_cndmask_b32 v40, -v48, v48, s1 :: v_dual_cndmask_b32 v21, -v21, v21, s0
	ds_bpermute_b32 v27, v38, v15
	ds_bpermute_b32 v44, v51, v16
	;; [unrolled: 1-line block ×3, first 2 shown]
	v_dual_cndmask_b32 v20, -v20, v20, s0 :: v_dual_cndmask_b32 v11, -v11, v11, s0
	ds_bpermute_b32 v42, v38, v18
	ds_bpermute_b32 v43, v38, v19
	s_wait_dscnt 0xa
	v_pk_add_f32 v[40:41], v[40:41], v[56:57]
	s_wait_dscnt 0x8
	v_pk_add_f32 v[12:13], v[20:21], v[12:13]
	v_dual_cndmask_b32 v10, -v10, v10, s0 :: v_dual_cndmask_b32 v15, -v15, v15, s10
	v_dual_cndmask_b32 v14, -v14, v14, s10 :: v_dual_cndmask_b32 v19, -v19, v19, s10
	ds_bpermute_b32 v46, v51, v40
	ds_bpermute_b32 v47, v51, v41
	;; [unrolled: 1-line block ×4, first 2 shown]
	s_wait_dscnt 0xa
	v_pk_add_f32 v[10:11], v[10:11], v[28:29]
	v_dual_cndmask_b32 v18, -v18, v18, s10 :: v_dual_cndmask_b32 v17, -v17, v17, s9
	v_dual_cndmask_b32 v16, -v16, v16, s9 :: v_dual_cndmask_b32 v29, -v41, v41, s9
	s_wait_dscnt 0x8
	v_pk_add_f32 v[14:15], v[14:15], v[26:27]
	ds_bpermute_b32 v26, v50, v10
	ds_bpermute_b32 v27, v50, v11
	s_wait_dscnt 0x8
	v_pk_add_f32 v[16:17], v[16:17], v[44:45]
	v_dual_cndmask_b32 v28, -v40, v40, s9 :: v_dual_cndmask_b32 v13, -v13, v13, s1
	s_wait_dscnt 0x6
	v_pk_add_f32 v[18:19], v[18:19], v[42:43]
	v_dual_cndmask_b32 v12, -v12, v12, s1 :: v_dual_cndmask_b32 v11, -v11, v11, s1
	ds_bpermute_b32 v42, v38, v16
	ds_bpermute_b32 v43, v38, v17
	v_dual_cndmask_b32 v10, -v10, v10, s1 :: v_dual_cndmask_b32 v55, -v15, v15, s11
	s_wait_dscnt 0x6
	v_pk_add_f32 v[28:29], v[28:29], v[46:47]
	s_wait_dscnt 0x4
	v_pk_add_f32 v[20:21], v[12:13], v[20:21]
	ds_bpermute_b32 v46, v39, v18
	ds_bpermute_b32 v47, v39, v19
	;; [unrolled: 1-line block ×7, first 2 shown]
	s_wait_dscnt 0x9
	v_pk_add_f32 v[26:27], v[10:11], v[26:27]
	v_dual_cndmask_b32 v11, -v17, v17, s10 :: v_dual_cndmask_b32 v10, -v16, v16, s10
	v_dual_cndmask_b32 v17, -v29, v29, s10 :: v_dual_cndmask_b32 v16, -v28, v28, s10
	ds_bpermute_b32 v56, v51, v26
	ds_bpermute_b32 v57, v51, v27
	;; [unrolled: 1-line block ×3, first 2 shown]
	s_wait_dscnt 0xa
	v_pk_add_f32 v[28:29], v[10:11], v[42:43]
	ds_load_b128 v[10:13], v53
	v_dual_cndmask_b32 v54, -v14, v14, s11 :: v_dual_cndmask_b32 v15, -v19, v19, s11
	v_dual_cndmask_b32 v14, -v18, v18, s11 :: v_dual_cndmask_b32 v19, -v21, v21, s9
	v_cndmask_b32_e64 v18, -v20, v20, s9
	ds_bpermute_b32 v59, v39, v29
	v_cndmask_b32_e64 v29, -v29, v29, s11
	s_wait_dscnt 0x7
	v_pk_add_f32 v[20:21], v[16:17], v[44:45]
	v_cndmask_b32_e64 v17, -v27, v27, s9
	s_wait_dscnt 0x5
	v_pk_add_f32 v[18:19], v[18:19], v[48:49]
	v_cndmask_b32_e64 v16, -v26, v26, s9
	v_pk_add_f32 v[44:45], v[14:15], v[46:47]
	ds_bpermute_b32 v26, v39, v20
	ds_bpermute_b32 v27, v39, v21
	;; [unrolled: 1-line block ×4, first 2 shown]
	s_wait_dscnt 0x7
	v_pk_add_f32 v[56:57], v[16:17], v[56:57]
	ds_load_b128 v[14:17], v53 offset:4096
	ds_bpermute_b32 v58, v39, v28
	s_wait_dscnt 0x7
	ds_bpermute_b32 v64, v1, v10
	ds_bpermute_b32 v65, v1, v11
	;; [unrolled: 1-line block ×6, first 2 shown]
	v_dual_cndmask_b32 v21, -v21, v21, s11 :: v_dual_cndmask_b32 v20, -v20, v20, s11
	v_dual_cndmask_b32 v28, -v28, v28, s11 :: v_dual_cndmask_b32 v19, -v19, v19, s10
	;; [unrolled: 1-line block ×4, first 2 shown]
	s_wait_dscnt 0xa
	v_pk_add_f32 v[48:49], v[20:21], v[26:27]
	v_dual_cndmask_b32 v21, -v57, v57, s10 :: v_dual_cndmask_b32 v20, -v56, v56, s10
	s_wait_dscnt 0x8
	v_pk_add_f32 v[18:19], v[18:19], v[60:61]
	v_cndmask_b32_e64 v10, -v10, v10, s0
	s_wait_dscnt 0x6
	v_pk_add_f32 v[46:47], v[28:29], v[58:59]
	v_pk_add_f32 v[42:43], v[54:55], v[40:41]
	ds_bpermute_b32 v40, v1, v16
	ds_bpermute_b32 v27, v39, v19
	v_cndmask_b32_e64 v19, -v19, v19, s11
	s_wait_dscnt 0x6
	v_pk_add_f32 v[10:11], v[10:11], v[64:65]
	s_wait_dscnt 0x4
	v_pk_add_f32 v[28:29], v[12:13], v[66:67]
	;; [unrolled: 2-line block ×3, first 2 shown]
	ds_bpermute_b32 v26, v39, v18
	ds_bpermute_b32 v41, v1, v17
	;; [unrolled: 1-line block ×10, first 2 shown]
	v_dual_cndmask_b32 v61, -v15, v15, s0 :: v_dual_cndmask_b32 v60, -v14, v14, s0
	ds_load_b128 v[12:15], v53 offset:8192
	v_dual_cndmask_b32 v20, -v20, v20, s11 :: v_dual_cndmask_b32 v11, -v11, v11, s1
	v_dual_cndmask_b32 v10, -v10, v10, s1 :: v_dual_cndmask_b32 v29, -v29, v29, s1
	;; [unrolled: 1-line block ×4, first 2 shown]
	s_wait_dscnt 0x7
	s_delay_alu instid0(VALU_DEP_3) | instskip(SKIP_1) | instid1(VALU_DEP_3)
	v_pk_add_f32 v[10:11], v[10:11], v[56:57]
	v_cndmask_b32_e64 v28, -v28, v28, s1
	v_pk_add_f32 v[16:17], v[16:17], v[40:41]
	s_wait_dscnt 0x5
	v_pk_add_f32 v[40:41], v[60:61], v[54:55]
	v_pk_add_f32 v[54:55], v[18:19], v[26:27]
	ds_bpermute_b32 v27, v51, v11
	v_cndmask_b32_e64 v11, -v11, v11, s9
	s_wait_dscnt 0x4
	v_pk_add_f32 v[28:29], v[28:29], v[58:59]
	ds_bpermute_b32 v60, v50, v16
	ds_bpermute_b32 v61, v50, v17
	s_wait_dscnt 0x4
	v_pk_add_f32 v[56:57], v[20:21], v[38:39]
	ds_load_b128 v[18:21], v53 offset:12288
	ds_bpermute_b32 v38, v51, v28
	ds_bpermute_b32 v39, v51, v29
	s_wait_dscnt 0x6
	ds_bpermute_b32 v58, v1, v12
	ds_bpermute_b32 v59, v1, v13
	ds_bpermute_b32 v62, v50, v40
	ds_bpermute_b32 v63, v50, v41
	ds_bpermute_b32 v26, v51, v10
	v_dual_cndmask_b32 v17, -v17, v17, s1 :: v_dual_cndmask_b32 v16, -v16, v16, s1
	v_dual_cndmask_b32 v10, -v10, v10, s9 :: v_dual_cndmask_b32 v29, -v29, v29, s9
	;; [unrolled: 1-line block ×4, first 2 shown]
	v_cndmask_b32_e64 v40, -v40, v40, s1
	s_wait_dscnt 0x8
	v_pk_add_f32 v[16:17], v[16:17], v[60:61]
	ds_bpermute_b32 v60, v1, v14
	ds_bpermute_b32 v61, v1, v15
	v_cndmask_b32_e64 v15, -v15, v15, s0
	s_wait_dscnt 0x7
	v_pk_add_f32 v[12:13], v[28:29], v[38:39]
	v_cndmask_b32_e64 v14, -v14, v14, s0
	s_wait_dscnt 0x5
	v_pk_add_f32 v[38:39], v[64:65], v[58:59]
	ds_bpermute_b32 v58, v1, v18
	s_wait_dscnt 0x4
	v_pk_add_f32 v[40:41], v[40:41], v[62:63]
	ds_bpermute_b32 v62, v51, v16
	ds_bpermute_b32 v63, v51, v17
	s_wait_dscnt 0x5
	v_pk_add_f32 v[10:11], v[10:11], v[26:27]
	ds_bpermute_b32 v64, v50, v38
	ds_bpermute_b32 v65, v50, v39
	ds_load_b128 v[26:29], v53 offset:16384
	ds_bpermute_b32 v59, v1, v19
	ds_bpermute_b32 v68, v1, v20
	;; [unrolled: 1-line block ×3, first 2 shown]
	v_dual_cndmask_b32 v17, -v17, v17, s9 :: v_dual_cndmask_b32 v16, -v16, v16, s9
	v_dual_cndmask_b32 v18, -v18, v18, s0 :: v_dual_cndmask_b32 v39, -v39, v39, s1
	s_wait_dscnt 0x9
	v_pk_add_f32 v[14:15], v[14:15], v[60:61]
	v_dual_cndmask_b32 v38, -v38, v38, s1 :: v_dual_cndmask_b32 v21, -v21, v21, s0
	ds_bpermute_b32 v66, v51, v40
	ds_bpermute_b32 v67, v51, v41
	v_dual_cndmask_b32 v61, -v41, v41, s9 :: v_dual_cndmask_b32 v60, -v40, v40, s9
	v_cndmask_b32_e64 v19, -v19, v19, s0
	s_wait_dscnt 0x8
	v_pk_add_f32 v[16:17], v[16:17], v[62:63]
	ds_bpermute_b32 v62, v50, v14
	ds_bpermute_b32 v63, v50, v15
	s_wait_dscnt 0x8
	v_pk_add_f32 v[64:65], v[38:39], v[64:65]
	ds_load_b128 v[38:41], v53 offset:20480
	s_wait_dscnt 0x8
	ds_bpermute_b32 v70, v1, v26
	ds_bpermute_b32 v71, v1, v27
	v_cndmask_b32_e64 v20, -v20, v20, s0
	s_wait_dscnt 0x9
	v_pk_add_f32 v[18:19], v[18:19], v[58:59]
	v_dual_cndmask_b32 v59, -v15, v15, s1 :: v_dual_cndmask_b32 v58, -v14, v14, s1
	v_cndmask_b32_e64 v27, -v27, v27, s0
	s_wait_dscnt 0x7
	v_pk_add_f32 v[20:21], v[20:21], v[68:69]
	ds_bpermute_b32 v68, v50, v18
	ds_bpermute_b32 v69, v50, v19
	v_cndmask_b32_e64 v26, -v26, v26, s0
	ds_bpermute_b32 v74, v1, v28
	ds_bpermute_b32 v72, v50, v20
	;; [unrolled: 1-line block ×4, first 2 shown]
	v_cndmask_b32_e64 v29, -v29, v29, s0
	s_wait_dscnt 0xb
	v_pk_add_f32 v[14:15], v[60:61], v[66:67]
	s_wait_dscnt 0x9
	v_pk_add_f32 v[58:59], v[58:59], v[62:63]
	ds_bpermute_b32 v60, v51, v64
	ds_bpermute_b32 v61, v51, v65
	v_dual_cndmask_b32 v28, -v28, v28, s0 :: v_dual_cndmask_b32 v19, -v19, v19, s1
	s_wait_dscnt 0x8
	v_pk_add_f32 v[26:27], v[26:27], v[70:71]
	ds_bpermute_b32 v62, v51, v58
	ds_bpermute_b32 v63, v51, v59
	v_dual_cndmask_b32 v18, -v18, v18, s1 :: v_dual_cndmask_b32 v21, -v21, v21, s1
	ds_bpermute_b32 v66, v50, v26
	ds_bpermute_b32 v67, v50, v27
	v_dual_cndmask_b32 v20, -v20, v20, s1 :: v_dual_cndmask_b32 v65, -v65, v65, s9
	s_wait_dscnt 0xa
	v_pk_add_f32 v[18:19], v[18:19], v[68:69]
	v_dual_cndmask_b32 v64, -v64, v64, s9 :: v_dual_cndmask_b32 v59, -v59, v59, s9
	s_wait_dscnt 0x7
	v_pk_add_f32 v[20:21], v[20:21], v[72:73]
	s_wait_dscnt 0x6
	v_pk_add_f32 v[28:29], v[28:29], v[74:75]
	ds_bpermute_b32 v68, v51, v18
	ds_bpermute_b32 v69, v51, v19
	v_dual_cndmask_b32 v58, -v58, v58, s9 :: v_dual_cndmask_b32 v75, -v19, v19, s9
	v_dual_cndmask_b32 v74, -v18, v18, s9 :: v_dual_cndmask_b32 v77, -v21, v21, s9
	;; [unrolled: 1-line block ×4, first 2 shown]
	ds_bpermute_b32 v70, v51, v20
	ds_bpermute_b32 v72, v50, v28
	;; [unrolled: 1-line block ×6, first 2 shown]
	s_wait_dscnt 0xa
	v_pk_add_f32 v[20:21], v[58:59], v[62:63]
	s_wait_dscnt 0x8
	v_pk_add_f32 v[62:63], v[18:19], v[66:67]
	v_pk_add_f32 v[18:19], v[64:65], v[60:61]
	ds_load_b128 v[58:61], v53 offset:24576
	ds_bpermute_b32 v66, v1, v40
	ds_bpermute_b32 v67, v1, v41
	v_dual_cndmask_b32 v26, -v28, v28, s1 :: v_dual_cndmask_b32 v39, -v39, v39, s0
	v_cndmask_b32_e64 v38, -v38, v38, s0
	s_wait_dscnt 0x6
	s_delay_alu instid0(VALU_DEP_2)
	v_pk_add_f32 v[64:65], v[26:27], v[72:73]
	v_pk_add_f32 v[26:27], v[74:75], v[68:69]
	v_dual_cndmask_b32 v73, -v41, v41, s0 :: v_dual_cndmask_b32 v72, -v40, v40, s0
	s_wait_dscnt 0x3
	v_pk_add_f32 v[74:75], v[38:39], v[78:79]
	ds_load_b128 v[38:41], v53 offset:28672
	s_wait_dscnt 0x0
	s_barrier_signal -1
	s_barrier_wait -1
	ds_store_b128 v52, v[6:9]
	ds_store_b128 v52, v[2:5] offset:4096
	ds_bpermute_b32 v4, v1, v60
	ds_bpermute_b32 v5, v1, v61
	ds_bpermute_b32 v69, v51, v63
	v_cndmask_b32_e64 v63, -v63, v63, s9
	v_pk_add_f32 v[66:67], v[72:73], v[66:67]
	ds_bpermute_b32 v72, v50, v74
	ds_bpermute_b32 v73, v50, v75
	;; [unrolled: 1-line block ×4, first 2 shown]
	v_pk_add_f32 v[28:29], v[76:77], v[70:71]
	ds_bpermute_b32 v77, v50, v67
	v_dual_cndmask_b32 v67, -v67, v67, s1 :: v_dual_cndmask_b32 v61, -v61, v61, s0
	ds_store_b128 v52, v[30:33] offset:8192
	ds_store_b128 v52, v[22:25] offset:12288
	;; [unrolled: 1-line block ×6, first 2 shown]
	s_wait_dscnt 0x0
	s_barrier_signal -1
	s_barrier_wait -1
	ds_load_b128 v[6:9], v53
	ds_load_b128 v[30:33], v53 offset:4096
	v_dual_cndmask_b32 v60, -v60, v60, s0 :: v_dual_cndmask_b32 v23, -v59, v59, s0
	ds_bpermute_b32 v70, v51, v64
	v_dual_cndmask_b32 v64, -v64, v64, s9 :: v_dual_cndmask_b32 v75, -v75, v75, s1
	v_pk_add_f32 v[24:25], v[60:61], v[4:5]
	v_cndmask_b32_e64 v74, -v74, v74, s1
	ds_bpermute_b32 v76, v50, v66
	v_cndmask_b32_e64 v66, -v66, v66, s1
	ds_bpermute_b32 v68, v51, v62
	ds_bpermute_b32 v42, v50, v24
	v_cndmask_b32_e64 v24, -v24, v24, s1
	v_pk_add_f32 v[36:37], v[74:75], v[72:73]
	v_cndmask_b32_e64 v22, -v58, v58, s0
	ds_bpermute_b32 v43, v50, v25
	v_cndmask_b32_e64 v25, -v25, v25, s1
	ds_bpermute_b32 v71, v51, v65
	ds_bpermute_b32 v47, v51, v37
	v_cndmask_b32_e64 v37, -v37, v37, s9
	v_pk_add_f32 v[22:23], v[22:23], v[2:3]
	s_wait_dscnt 0x8
	ds_bpermute_b32 v54, v1, v6
	ds_bpermute_b32 v55, v1, v7
	;; [unrolled: 1-line block ×7, first 2 shown]
	s_wait_dscnt 0xc
	v_pk_add_f32 v[34:35], v[66:67], v[76:77]
	v_dual_cndmask_b32 v23, -v23, v23, s1 :: v_dual_cndmask_b32 v22, -v22, v22, s1
	v_dual_cndmask_b32 v7, -v7, v7, s0 :: v_dual_cndmask_b32 v6, -v6, v6, s0
	v_cndmask_b32_e64 v9, -v9, v9, s0
	ds_bpermute_b32 v48, v51, v34
	ds_bpermute_b32 v49, v51, v35
	s_wait_dscnt 0xb
	v_pk_add_f32 v[24:25], v[24:25], v[42:43]
	v_cndmask_b32_e64 v34, -v34, v34, s9
	v_dual_cndmask_b32 v62, -v62, v62, s9 :: v_dual_cndmask_b32 v65, -v65, v65, s9
	s_delay_alu instid0(VALU_DEP_3) | instskip(SKIP_2) | instid1(VALU_DEP_3)
	v_dual_cndmask_b32 v8, -v8, v8, s0 :: v_dual_cndmask_b32 v59, -v25, v25, s9
	s_wait_dscnt 0x7
	v_pk_add_f32 v[6:7], v[6:7], v[54:55]
	v_pk_add_f32 v[2:3], v[62:63], v[68:69]
	v_dual_cndmask_b32 v36, -v36, v36, s9 :: v_dual_cndmask_b32 v35, -v35, v35, s9
	s_wait_dscnt 0x3
	v_pk_add_f32 v[42:43], v[22:23], v[44:45]
	ds_bpermute_b32 v44, v51, v24
	ds_bpermute_b32 v45, v51, v25
	ds_bpermute_b32 v60, v50, v6
	ds_bpermute_b32 v61, v50, v7
	v_pk_add_f32 v[56:57], v[8:9], v[56:57]
	ds_bpermute_b32 v62, v1, v30
	ds_bpermute_b32 v63, v1, v31
	ds_bpermute_b32 v66, v1, v32
	ds_bpermute_b32 v67, v1, v33
	;; [unrolled: 5-line block ×3, first 2 shown]
	v_dual_cndmask_b32 v58, -v24, v24, s9 :: v_dual_cndmask_b32 v43, -v43, v43, s9
	s_wait_dscnt 0xc
	v_pk_add_f32 v[24:25], v[34:35], v[48:49]
	v_pk_add_f32 v[22:23], v[36:37], v[46:47]
	ds_load_b128 v[34:37], v53 offset:8192
	v_dual_cndmask_b32 v42, -v42, v42, s9 :: v_dual_cndmask_b32 v33, -v33, v33, s0
	s_wait_dscnt 0xb
	v_pk_add_f32 v[8:9], v[58:59], v[44:45]
	v_dual_cndmask_b32 v45, -v7, v7, s1 :: v_dual_cndmask_b32 v44, -v6, v6, s1
	v_dual_cndmask_b32 v7, -v31, v31, s0 :: v_dual_cndmask_b32 v6, -v30, v30, s0
	;; [unrolled: 1-line block ×3, first 2 shown]
	s_wait_dscnt 0x9
	s_delay_alu instid0(VALU_DEP_3)
	v_pk_add_f32 v[48:49], v[44:45], v[60:61]
	v_cndmask_b32_e64 v32, -v32, v32, s0
	s_wait_dscnt 0x7
	v_pk_add_f32 v[46:47], v[6:7], v[62:63]
	s_wait_dscnt 0x3
	v_pk_add_f32 v[6:7], v[42:43], v[54:55]
	ds_load_b128 v[42:45], v53 offset:12288
	ds_bpermute_b32 v57, v51, v49
	v_cndmask_b32_e64 v49, -v49, v49, s9
	v_pk_add_f32 v[32:33], v[32:33], v[66:67]
	s_wait_dscnt 0x3
	v_pk_add_f32 v[30:31], v[30:31], v[64:65]
	ds_bpermute_b32 v54, v50, v46
	ds_bpermute_b32 v55, v50, v47
	s_wait_dscnt 0x4
	ds_bpermute_b32 v60, v1, v34
	ds_bpermute_b32 v58, v50, v32
	;; [unrolled: 1-line block ×9, first 2 shown]
	v_dual_cndmask_b32 v48, -v48, v48, s9 :: v_dual_cndmask_b32 v47, -v47, v47, s1
	v_dual_cndmask_b32 v46, -v46, v46, s1 :: v_dual_cndmask_b32 v31, -v31, v31, s9
	;; [unrolled: 1-line block ×5, first 2 shown]
	s_wait_dscnt 0x9
	v_pk_add_f32 v[46:47], v[46:47], v[54:55]
	v_cndmask_b32_e64 v36, -v36, v36, s0
	ds_bpermute_b32 v68, v1, v42
	s_wait_dscnt 0x7
	v_pk_add_f32 v[54:55], v[32:33], v[58:59]
	s_wait_dscnt 0x6
	v_pk_add_f32 v[34:35], v[34:35], v[60:61]
	ds_bpermute_b32 v69, v1, v43
	ds_bpermute_b32 v58, v51, v46
	;; [unrolled: 1-line block ×5, first 2 shown]
	s_wait_dscnt 0x6
	v_pk_add_f32 v[32:33], v[30:31], v[64:65]
	v_pk_add_f32 v[30:31], v[48:49], v[56:57]
	v_cndmask_b32_e64 v57, -v47, v47, s9
	v_pk_add_f32 v[36:37], v[36:37], v[62:63]
	ds_bpermute_b32 v62, v50, v34
	ds_bpermute_b32 v63, v50, v35
	v_dual_cndmask_b32 v56, -v46, v46, s9 :: v_dual_cndmask_b32 v55, -v55, v55, s9
	ds_bpermute_b32 v66, v50, v36
	ds_bpermute_b32 v67, v50, v37
	;; [unrolled: 1-line block ×4, first 2 shown]
	ds_load_b128 v[46:49], v53 offset:16384
	v_dual_cndmask_b32 v54, -v54, v54, s9 :: v_dual_cndmask_b32 v35, -v35, v35, s1
	v_dual_cndmask_b32 v34, -v34, v34, s1 :: v_dual_cndmask_b32 v71, -v37, v37, s1
	;; [unrolled: 1-line block ×3, first 2 shown]
	v_cndmask_b32_e64 v70, -v36, v36, s1
	s_wait_dscnt 0x7
	v_pk_add_f32 v[36:37], v[54:55], v[60:61]
	v_cndmask_b32_e64 v78, -v39, v39, s0
	ds_bpermute_b32 v81, v1, v40
	v_pk_add_f32 v[54:55], v[42:43], v[68:69]
	v_cndmask_b32_e64 v43, -v45, v45, s0
	s_wait_dscnt 0x6
	v_pk_add_f32 v[62:63], v[34:35], v[62:63]
	v_cndmask_b32_e64 v42, -v44, v44, s0
	v_pk_add_f32 v[34:35], v[56:57], v[58:59]
	ds_bpermute_b32 v60, v50, v54
	s_wait_dscnt 0x5
	v_pk_add_f32 v[56:57], v[70:71], v[66:67]
	ds_bpermute_b32 v61, v50, v55
	ds_bpermute_b32 v59, v51, v63
	v_cndmask_b32_e64 v63, -v63, v63, s9
	s_wait_dscnt 0x5
	v_pk_add_f32 v[64:65], v[42:43], v[64:65]
	ds_load_b128 v[42:45], v53 offset:20480
	s_wait_dscnt 0x5
	ds_bpermute_b32 v70, v1, v46
	ds_bpermute_b32 v71, v1, v47
	;; [unrolled: 1-line block ×9, first 2 shown]
	v_dual_cndmask_b32 v62, -v62, v62, s9 :: v_dual_cndmask_b32 v55, -v55, v55, s1
	v_dual_cndmask_b32 v54, -v54, v54, s1 :: v_dual_cndmask_b32 v57, -v57, v57, s9
	;; [unrolled: 1-line block ×5, first 2 shown]
	s_wait_dscnt 0x9
	ds_bpermute_b32 v74, v1, v42
	ds_bpermute_b32 v75, v1, v43
	;; [unrolled: 1-line block ×4, first 2 shown]
	v_dual_cndmask_b32 v64, -v64, v64, s1 :: v_dual_cndmask_b32 v43, -v43, v43, s0
	v_pk_add_f32 v[54:55], v[54:55], v[60:61]
	s_wait_dscnt 0xb
	v_pk_add_f32 v[60:61], v[46:47], v[70:71]
	s_wait_dscnt 0x9
	;; [unrolled: 2-line block ×4, first 2 shown]
	v_pk_add_f32 v[56:57], v[64:65], v[68:69]
	v_dual_cndmask_b32 v42, -v42, v42, s0 :: v_dual_cndmask_b32 v45, -v45, v45, s0
	ds_bpermute_b32 v66, v50, v60
	ds_bpermute_b32 v67, v50, v61
	;; [unrolled: 1-line block ×4, first 2 shown]
	v_dual_cndmask_b32 v44, -v44, v44, s0 :: v_dual_cndmask_b32 v49, -v49, v49, s1
	v_cndmask_b32_e64 v48, -v48, v48, s1
	ds_bpermute_b32 v70, v51, v56
	s_wait_dscnt 0x7
	v_pk_add_f32 v[42:43], v[42:43], v[74:75]
	ds_bpermute_b32 v71, v51, v57
	s_wait_dscnt 0x6
	v_pk_add_f32 v[72:73], v[44:45], v[76:77]
	v_dual_cndmask_b32 v45, -v61, v61, s1 :: v_dual_cndmask_b32 v44, -v60, v60, s1
	ds_bpermute_b32 v60, v50, v42
	ds_bpermute_b32 v61, v50, v43
	;; [unrolled: 1-line block ×4, first 2 shown]
	v_cndmask_b32_e64 v57, -v57, v57, s9
	ds_bpermute_b32 v64, v51, v54
	ds_bpermute_b32 v65, v51, v55
	v_dual_cndmask_b32 v56, -v56, v56, s9 :: v_dual_cndmask_b32 v43, -v43, v43, s1
	s_wait_dscnt 0xa
	v_pk_add_f32 v[66:67], v[44:45], v[66:67]
	s_wait_dscnt 0x8
	v_pk_add_f32 v[48:49], v[48:49], v[68:69]
	v_pk_add_f32 v[44:45], v[62:63], v[58:59]
	v_dual_cndmask_b32 v42, -v42, v42, s1 :: v_dual_cndmask_b32 v59, -v73, v73, s1
	ds_bpermute_b32 v62, v51, v66
	ds_bpermute_b32 v68, v51, v48
	;; [unrolled: 1-line block ×4, first 2 shown]
	v_dual_cndmask_b32 v58, -v72, v72, s1 :: v_dual_cndmask_b32 v55, -v55, v55, s9
	ds_bpermute_b32 v76, v1, v38
	v_dual_cndmask_b32 v54, -v54, v54, s9 :: v_dual_cndmask_b32 v49, -v49, v49, s9
	s_wait_dscnt 0xb
	v_pk_add_f32 v[56:57], v[56:57], v[70:71]
	s_wait_dscnt 0x9
	v_pk_add_f32 v[42:43], v[42:43], v[60:61]
	;; [unrolled: 2-line block ×3, first 2 shown]
	ds_load_b128 v[58:61], v53 offset:24576
	v_dual_cndmask_b32 v48, -v48, v48, s9 :: v_dual_cndmask_b32 v67, -v67, v67, s9
	ds_bpermute_b32 v77, v1, v39
	v_cndmask_b32_e64 v66, -v66, v66, s9
	s_wait_dscnt 0x7
	v_pk_add_f32 v[54:55], v[54:55], v[64:65]
	v_cndmask_b32_e64 v38, -v38, v38, s0
	ds_bpermute_b32 v74, v51, v70
	ds_bpermute_b32 v75, v51, v71
	v_cndmask_b32_e64 v40, -v40, v40, s0
	s_wait_dscnt 0x6
	v_pk_add_f32 v[64:65], v[48:49], v[68:69]
	v_cndmask_b32_e64 v49, -v71, v71, s9
	s_wait_dscnt 0x5
	v_pk_add_f32 v[62:63], v[66:67], v[62:63]
	ds_load_b128 v[66:69], v53 offset:28672
	s_wait_dscnt 0x5
	v_add_f32_e32 v80, v38, v76
	v_cndmask_b32_e64 v48, -v70, v70, s9
	ds_bpermute_b32 v72, v51, v42
	v_dual_cndmask_b32 v42, -v42, v42, s9 :: v_dual_cndmask_b32 v85, -v41, v41, s0
	ds_bpermute_b32 v73, v51, v43
	s_wait_dscnt 0x6
	ds_bpermute_b32 v39, v1, v61
	v_cndmask_b32_e64 v61, -v61, v61, s0
	ds_bpermute_b32 v83, v50, v80
	s_wait_dscnt 0x7
	v_add_f32_e32 v82, v78, v77
	ds_bpermute_b32 v70, v1, v58
	ds_bpermute_b32 v71, v1, v59
	;; [unrolled: 1-line block ×3, first 2 shown]
	v_cndmask_b32_e64 v60, -v60, v60, s0
	ds_bpermute_b32 v84, v50, v82
	v_dual_cndmask_b32 v80, -v80, v80, s1 :: v_dual_cndmask_b32 v59, -v59, v59, s0
	v_dual_cndmask_b32 v58, -v58, v58, s0 :: v_dual_add_f32 v81, v40, v81
	v_cndmask_b32_e64 v82, -v82, v82, s1
	s_wait_dscnt 0x8
	ds_bpermute_b32 v76, v1, v66
	ds_bpermute_b32 v77, v1, v67
	;; [unrolled: 1-line block ×5, first 2 shown]
	v_dual_cndmask_b32 v66, -v66, v66, s0 :: v_dual_cndmask_b32 v69, -v69, v69, s0
	v_cndmask_b32_e64 v68, -v68, v68, s0
	s_wait_dscnt 0x9
	v_add_f32_e32 v80, v80, v83
	v_cndmask_b32_e64 v67, -v67, v67, s0
	ds_bpermute_b32 v83, v50, v81
	s_wait_dscnt 0x8
	v_pk_add_f32 v[40:41], v[58:59], v[70:71]
	s_wait_dscnt 0x7
	v_pk_add_f32 v[38:39], v[60:61], v[38:39]
	s_wait_dscnt 0x6
	v_dual_cndmask_b32 v43, -v43, v43, s9 :: v_dual_add_f32 v82, v82, v84
	v_cndmask_b32_e64 v86, -v80, v80, s9
	ds_bpermute_b32 v58, v50, v40
	ds_bpermute_b32 v59, v50, v41
	;; [unrolled: 1-line block ×4, first 2 shown]
	v_dual_cndmask_b32 v41, -v41, v41, s1 :: v_dual_cndmask_b32 v39, -v39, v39, s1
	s_wait_dscnt 0x8
	v_pk_add_f32 v[66:67], v[66:67], v[76:77]
	s_wait_dscnt 0x6
	v_pk_add_f32 v[68:69], v[68:69], v[78:79]
	s_wait_dscnt 0x5
	v_add_f32_e32 v1, v85, v1
	v_dual_cndmask_b32 v78, -v81, v81, s1 :: v_dual_cndmask_b32 v40, -v40, v40, s1
	ds_bpermute_b32 v70, v50, v66
	ds_bpermute_b32 v71, v50, v67
	;; [unrolled: 1-line block ×5, first 2 shown]
	v_cndmask_b32_e64 v38, -v38, v38, s1
	s_wait_dscnt 0x9
	v_dual_add_f32 v50, v78, v83 :: v_dual_cndmask_b32 v1, -v1, v1, s1
	ds_bpermute_b32 v83, v51, v82
	v_cndmask_b32_e64 v82, -v82, v82, s9
	s_wait_dscnt 0x8
	v_pk_add_f32 v[58:59], v[40:41], v[58:59]
	v_cndmask_b32_e64 v41, -v69, v69, s1
	s_wait_dscnt 0x6
	v_pk_add_f32 v[60:61], v[38:39], v[60:61]
	v_dual_cndmask_b32 v39, -v67, v67, s1 :: v_dual_cndmask_b32 v38, -v66, v66, s1
	v_cndmask_b32_e64 v40, -v68, v68, s1
	ds_bpermute_b32 v84, v51, v80
	ds_bpermute_b32 v85, v51, v50
	;; [unrolled: 1-line block ×4, first 2 shown]
	s_wait_dscnt 0x0
	v_pk_add_f32 v[68:69], v[38:39], v[70:71]
	v_add_f32_e32 v1, v1, v79
	s_barrier_signal -1
	v_pk_add_f32 v[70:71], v[40:41], v[76:77]
	ds_bpermute_b32 v76, v51, v60
	ds_bpermute_b32 v77, v51, v61
	v_cndmask_b32_e64 v40, -v50, v50, s9
	ds_bpermute_b32 v41, v51, v1
	ds_bpermute_b32 v78, v51, v68
	;; [unrolled: 1-line block ×5, first 2 shown]
	v_pk_add_f32 v[50:51], v[48:49], v[74:75]
	v_pk_add_f32 v[48:49], v[42:43], v[72:73]
	v_add_f32_e32 v39, v82, v83
	v_dual_cndmask_b32 v43, -v59, v59, s9 :: v_dual_cndmask_b32 v42, -v58, v58, s9
	v_dual_cndmask_b32 v59, -v61, v61, s9 :: v_dual_cndmask_b32 v58, -v60, v60, s9
	v_cndmask_b32_e64 v1, -v1, v1, s9
	v_dual_cndmask_b32 v73, -v69, v69, s9 :: v_dual_cndmask_b32 v71, -v71, v71, s9
	v_dual_cndmask_b32 v70, -v70, v70, s9 :: v_dual_cndmask_b32 v72, -v68, v68, s9
	v_dual_add_f32 v38, v86, v84 :: v_dual_add_f32 v40, v40, v85
	s_wait_dscnt 0x5
	v_pk_add_f32 v[60:61], v[58:59], v[76:77]
	s_wait_dscnt 0x4
	v_add_f32_e32 v41, v1, v41
	v_pk_add_f32 v[58:59], v[42:43], v[66:67]
	s_barrier_wait -1
	s_wait_dscnt 0x1
	v_pk_add_f32 v[68:69], v[70:71], v[80:81]
	s_wait_dscnt 0x0
	v_pk_add_f32 v[66:67], v[72:73], v[78:79]
	ds_store_b128 v53, v[10:13]
	ds_store_b128 v53, v[14:17] offset:4096
	ds_store_b128 v53, v[18:21] offset:8192
	;; [unrolled: 1-line block ×7, first 2 shown]
	s_wait_dscnt 0x0
	s_barrier_signal -1
	s_barrier_wait -1
	ds_load_b128 v[18:21], v52
	ds_load_b128 v[2:5], v52 offset:4096
	ds_load_b128 v[26:29], v52 offset:8192
	;; [unrolled: 1-line block ×7, first 2 shown]
	s_wait_dscnt 0x0
	s_barrier_signal -1
	s_barrier_wait -1
	ds_store_b128 v53, v[30:33]
	ds_store_b128 v53, v[34:37] offset:4096
	ds_store_b128 v53, v[44:47] offset:8192
	;; [unrolled: 1-line block ×7, first 2 shown]
	s_wait_dscnt 0x0
	s_barrier_signal -1
	s_barrier_wait -1
	ds_load_b128 v[46:49], v52
	ds_load_b128 v[54:57], v52 offset:8192
	ds_load_b128 v[30:33], v52 offset:16384
	;; [unrolled: 1-line block ×7, first 2 shown]
	s_mul_u64 s[0:1], s[18:19], s[20:21]
	s_delay_alu instid0(SALU_CYCLE_1)
	s_lshl_b64 s[0:1], s[0:1], 1
	v_pk_add_f32 v[84:85], v[20:21], v[28:29]
	v_pk_add_f32 v[82:83], v[18:19], v[26:27]
	;; [unrolled: 1-line block ×8, first 2 shown]
	s_add_nc_u64 s[0:1], s[14:15], s[0:1]
	v_pk_add_f32 v[66:67], v[84:85], v[88:89]
	v_pk_add_f32 v[68:69], v[82:83], v[86:87]
	;; [unrolled: 1-line block ×4, first 2 shown]
	s_wait_dscnt 0x6
	v_pk_add_f32 v[90:91], v[48:49], v[56:57]
	v_pk_add_f32 v[92:93], v[46:47], v[54:55]
	s_wait_dscnt 0x4
	v_pk_add_f32 v[94:95], v[32:33], v[36:37]
	v_pk_add_f32 v[96:97], v[30:31], v[34:35]
	;; [unrolled: 3-line block ×4, first 2 shown]
	v_pk_add_f32 v[70:71], v[90:91], v[94:95]
	v_pk_add_f32 v[72:73], v[92:93], v[96:97]
	s_delay_alu instid0(VALU_DEP_4) | instskip(NEXT) | instid1(VALU_DEP_4)
	v_pk_add_f32 v[78:79], v[108:109], v[112:113]
	v_pk_add_f32 v[80:81], v[104:105], v[110:111]
	s_and_saveexec_b32 s9, s8
	s_cbranch_execz .LBB37_18
; %bb.17:
	s_mov_b32 s10, s12
	s_mov_b32 s11, s12
	v_mov_b64_e32 v[120:121], s[12:13]
	v_mov_b64_e32 v[116:117], s[10:11]
	v_pk_add_f32 v[114:115], v[70:71], v[66:67]
	v_pk_add_f32 v[118:119], v[78:79], v[74:75]
	;; [unrolled: 1-line block ×4, first 2 shown]
	s_delay_alu instid0(VALU_DEP_3) | instskip(SKIP_1) | instid1(VALU_DEP_4)
	v_pk_mul_f32 v[118:119], v[116:117], v[118:119]
	v_pk_mul_f32 v[114:115], v[116:117], v[114:115]
	;; [unrolled: 1-line block ×3, first 2 shown]
	s_delay_alu instid0(VALU_DEP_4) | instskip(NEXT) | instid1(VALU_DEP_4)
	v_pk_mul_f32 v[120:121], v[120:121], v[124:125]
	v_cvt_pk_bf16_f32 v117, v118, v119
	s_delay_alu instid0(VALU_DEP_4) | instskip(NEXT) | instid1(VALU_DEP_4)
	v_cvt_pk_bf16_f32 v115, v114, v115
	v_cvt_pk_bf16_f32 v116, v122, v123
	s_delay_alu instid0(VALU_DEP_4)
	v_cvt_pk_bf16_f32 v114, v120, v121
	global_store_b128 v0, v[114:117], s[0:1] scale_offset
.LBB37_18:
	s_wait_xcnt 0x0
	s_or_b32 exec_lo, exec_lo, s9
	v_dual_sub_f32 v117, v21, v29 :: v_dual_sub_f32 v116, v20, v28
	v_dual_sub_f32 v115, v19, v27 :: v_dual_sub_f32 v114, v18, v26
	v_dual_sub_f32 v121, v25, v41 :: v_dual_sub_f32 v120, v24, v40
	v_dual_sub_f32 v119, v23, v39 :: v_dual_sub_f32 v118, v22, v38
	v_dual_sub_f32 v41, v5, v13 :: v_dual_sub_f32 v40, v4, v12
	v_dual_sub_f32 v39, v3, v11 :: v_dual_sub_f32 v38, v2, v10
	v_dual_sub_f32 v125, v9, v17 :: v_dual_sub_f32 v124, v8, v16
	v_dual_sub_f32 v123, v7, v15 :: v_dual_sub_f32 v122, v6, v14
	v_dual_sub_f32 v57, v49, v57 :: v_dual_sub_f32 v56, v48, v56
	v_dual_sub_f32 v55, v47, v55 :: v_dual_sub_f32 v54, v46, v54
	v_dual_sub_f32 v49, v61, v65 :: v_dual_sub_f32 v48, v60, v64
	v_dual_sub_f32 v47, v59, v63 :: v_dual_sub_f32 v46, v58, v62
	v_dual_sub_f32 v61, v33, v37 :: v_dual_sub_f32 v60, v32, v36
	v_dual_sub_f32 v59, v31, v35 :: v_dual_sub_f32 v58, v30, v34
	v_dual_sub_f32 v45, v45, v53 :: v_dual_sub_f32 v44, v44, v52
	v_dual_sub_f32 v51, v43, v51 :: v_dual_sub_f32 v50, v42, v50
	v_pk_add_f32 v[0:1], v[116:117], v[120:121]
	v_pk_add_f32 v[2:3], v[114:115], v[118:119]
	v_pk_add_f32 v[4:5], v[56:57], v[60:61]
	v_pk_add_f32 v[6:7], v[54:55], v[58:59]
	v_pk_add_f32 v[8:9], v[40:41], v[124:125]
	v_pk_add_f32 v[10:11], v[38:39], v[122:123]
	v_pk_add_f32 v[12:13], v[48:49], v[44:45]
	v_pk_add_f32 v[18:19], v[46:47], v[50:51]
	s_and_saveexec_b32 s8, s7
	s_cbranch_execz .LBB37_20
; %bb.19:
	s_mov_b32 s10, s12
	s_mov_b32 s11, s12
	v_mov_b64_e32 v[22:23], s[12:13]
	v_mov_b64_e32 v[16:17], s[10:11]
	v_pk_add_f32 v[14:15], v[4:5], v[0:1]
	v_pk_add_f32 v[20:21], v[12:13], v[8:9]
	;; [unrolled: 1-line block ×4, first 2 shown]
	s_delay_alu instid0(VALU_DEP_3) | instskip(SKIP_1) | instid1(VALU_DEP_4)
	v_pk_mul_f32 v[20:21], v[16:17], v[20:21]
	v_pk_mul_f32 v[14:15], v[16:17], v[14:15]
	;; [unrolled: 1-line block ×3, first 2 shown]
	s_delay_alu instid0(VALU_DEP_4) | instskip(NEXT) | instid1(VALU_DEP_4)
	v_pk_mul_f32 v[22:23], v[22:23], v[26:27]
	v_cvt_pk_bf16_f32 v17, v20, v21
	s_delay_alu instid0(VALU_DEP_4) | instskip(NEXT) | instid1(VALU_DEP_4)
	v_cvt_pk_bf16_f32 v15, v14, v15
	v_cvt_pk_bf16_f32 v16, v24, v25
	s_delay_alu instid0(VALU_DEP_4)
	v_cvt_pk_bf16_f32 v14, v22, v23
	global_store_b128 v132, v[14:17], s[0:1] scale_offset
.LBB37_20:
	s_wait_xcnt 0x0
	s_or_b32 exec_lo, exec_lo, s8
	v_dual_sub_f32 v15, v85, v89 :: v_dual_sub_f32 v14, v84, v88
	v_dual_sub_f32 v17, v83, v87 :: v_dual_sub_f32 v16, v82, v86
	;; [unrolled: 1-line block ×8, first 2 shown]
	s_and_saveexec_b32 s7, s6
	s_cbranch_execz .LBB37_22
; %bb.21:
	s_mov_b32 s8, s12
	s_mov_b32 s9, s12
	v_mov_b64_e32 v[42:43], s[12:13]
	v_mov_b64_e32 v[34:35], s[8:9]
	v_pk_add_f32 v[30:31], v[14:15], v[20:21]
	v_pk_add_f32 v[36:37], v[24:25], v[28:29]
	;; [unrolled: 1-line block ×4, first 2 shown]
	s_delay_alu instid0(VALU_DEP_3) | instskip(SKIP_1) | instid1(VALU_DEP_4)
	v_pk_mul_f32 v[36:37], v[34:35], v[36:37]
	v_pk_mul_f32 v[30:31], v[34:35], v[30:31]
	;; [unrolled: 1-line block ×3, first 2 shown]
	s_delay_alu instid0(VALU_DEP_4) | instskip(NEXT) | instid1(VALU_DEP_4)
	v_pk_mul_f32 v[42:43], v[42:43], v[62:63]
	v_cvt_pk_bf16_f32 v37, v36, v37
	s_delay_alu instid0(VALU_DEP_4) | instskip(NEXT) | instid1(VALU_DEP_4)
	v_cvt_pk_bf16_f32 v35, v30, v31
	v_cvt_pk_bf16_f32 v36, v52, v53
	s_delay_alu instid0(VALU_DEP_4)
	v_cvt_pk_bf16_f32 v34, v42, v43
	global_store_b128 v131, v[34:37], s[0:1] scale_offset
.LBB37_22:
	s_wait_xcnt 0x0
	s_or_b32 exec_lo, exec_lo, s7
	v_dual_sub_f32 v31, v117, v121 :: v_dual_sub_f32 v30, v116, v120
	v_dual_sub_f32 v35, v115, v119 :: v_dual_sub_f32 v34, v114, v118
	;; [unrolled: 1-line block ×8, first 2 shown]
	s_and_saveexec_b32 s6, s2
	s_cbranch_execnz .LBB37_28
; %bb.23:
	s_or_b32 exec_lo, exec_lo, s6
	s_and_saveexec_b32 s2, s5
	s_cbranch_execnz .LBB37_29
.LBB37_24:
	s_or_b32 exec_lo, exec_lo, s2
	s_and_saveexec_b32 s2, s3
	s_cbranch_execnz .LBB37_30
.LBB37_25:
	s_or_b32 exec_lo, exec_lo, s2
	s_and_saveexec_b32 s2, s4
	s_cbranch_execnz .LBB37_31
.LBB37_26:
	s_or_b32 exec_lo, exec_lo, s2
	s_and_saveexec_b32 s2, vcc_lo
	s_cbranch_execnz .LBB37_32
.LBB37_27:
	s_sendmsg sendmsg(MSG_DEALLOC_VGPRS)
	s_endpgm
.LBB37_28:
	s_mov_b32 s8, s12
	s_mov_b32 s9, s12
	v_mov_b64_e32 v[54:55], s[12:13]
	v_mov_b64_e32 v[50:51], s[8:9]
	v_pk_add_f32 v[48:49], v[30:31], v[38:39]
	v_pk_add_f32 v[52:53], v[36:37], v[44:45]
	;; [unrolled: 1-line block ×4, first 2 shown]
	s_delay_alu instid0(VALU_DEP_3) | instskip(SKIP_1) | instid1(VALU_DEP_4)
	v_pk_mul_f32 v[52:53], v[50:51], v[52:53]
	v_pk_mul_f32 v[48:49], v[50:51], v[48:49]
	;; [unrolled: 1-line block ×3, first 2 shown]
	s_delay_alu instid0(VALU_DEP_4) | instskip(NEXT) | instid1(VALU_DEP_4)
	v_pk_mul_f32 v[54:55], v[54:55], v[58:59]
	v_cvt_pk_bf16_f32 v51, v52, v53
	s_delay_alu instid0(VALU_DEP_4) | instskip(NEXT) | instid1(VALU_DEP_4)
	v_cvt_pk_bf16_f32 v49, v48, v49
	v_cvt_pk_bf16_f32 v50, v56, v57
	s_delay_alu instid0(VALU_DEP_4)
	v_cvt_pk_bf16_f32 v48, v54, v55
	global_store_b128 v129, v[48:51], s[0:1] scale_offset
	s_wait_xcnt 0x0
	s_or_b32 exec_lo, exec_lo, s6
	s_and_saveexec_b32 s2, s5
	s_cbranch_execz .LBB37_24
.LBB37_29:
	s_mov_b32 s6, s12
	s_mov_b32 s7, s12
	v_mov_b64_e32 v[54:55], s[12:13]
	v_mov_b64_e32 v[52:53], s[6:7]
	v_dual_sub_f32 v49, v69, v73 :: v_dual_sub_f32 v51, v67, v71
	v_dual_sub_f32 v57, v77, v81 :: v_dual_sub_f32 v59, v75, v79
	;; [unrolled: 1-line block ×4, first 2 shown]
	s_delay_alu instid0(VALU_DEP_2) | instskip(NEXT) | instid1(VALU_DEP_3)
	v_pk_mul_f32 v[58:59], v[52:53], v[58:59]
	v_pk_mul_f32 v[56:57], v[54:55], v[56:57]
	s_delay_alu instid0(VALU_DEP_3) | instskip(NEXT) | instid1(VALU_DEP_4)
	v_pk_mul_f32 v[52:53], v[52:53], v[50:51]
	v_pk_mul_f32 v[54:55], v[54:55], v[48:49]
	s_delay_alu instid0(VALU_DEP_4) | instskip(NEXT) | instid1(VALU_DEP_4)
	v_cvt_pk_bf16_f32 v51, v58, v59
	v_cvt_pk_bf16_f32 v50, v56, v57
	s_delay_alu instid0(VALU_DEP_4) | instskip(NEXT) | instid1(VALU_DEP_4)
	v_cvt_pk_bf16_f32 v49, v52, v53
	v_cvt_pk_bf16_f32 v48, v54, v55
	global_store_b128 v127, v[48:51], s[0:1] scale_offset
	s_wait_xcnt 0x0
	s_or_b32 exec_lo, exec_lo, s2
	s_and_saveexec_b32 s2, s3
	s_cbranch_execz .LBB37_25
.LBB37_30:
	s_mov_b32 s6, s12
	s_mov_b32 s7, s12
	v_mov_b64_e32 v[50:51], s[12:13]
	v_mov_b64_e32 v[48:49], s[6:7]
	v_dual_sub_f32 v3, v3, v7 :: v_dual_sub_f32 v1, v1, v5
	v_dual_sub_f32 v11, v11, v19 :: v_dual_sub_f32 v9, v9, v13
	;; [unrolled: 1-line block ×4, first 2 shown]
	s_delay_alu instid0(VALU_DEP_2) | instskip(NEXT) | instid1(VALU_DEP_3)
	v_pk_mul_f32 v[4:5], v[48:49], v[8:9]
	v_pk_mul_f32 v[6:7], v[50:51], v[10:11]
	s_delay_alu instid0(VALU_DEP_3) | instskip(NEXT) | instid1(VALU_DEP_4)
	v_pk_mul_f32 v[0:1], v[48:49], v[0:1]
	v_pk_mul_f32 v[8:9], v[50:51], v[2:3]
	s_delay_alu instid0(VALU_DEP_4) | instskip(NEXT) | instid1(VALU_DEP_4)
	v_cvt_pk_bf16_f32 v3, v4, v5
	v_cvt_pk_bf16_f32 v2, v6, v7
	s_delay_alu instid0(VALU_DEP_4) | instskip(NEXT) | instid1(VALU_DEP_4)
	v_cvt_pk_bf16_f32 v1, v0, v1
	v_cvt_pk_bf16_f32 v0, v8, v9
	global_store_b128 v128, v[0:3], s[0:1] scale_offset
	s_wait_xcnt 0x0
	s_or_b32 exec_lo, exec_lo, s2
	s_and_saveexec_b32 s2, s4
	s_cbranch_execz .LBB37_26
.LBB37_31:
	s_mov_b32 s4, s12
	s_mov_b32 s5, s12
	v_mov_b64_e32 v[6:7], s[12:13]
	v_mov_b64_e32 v[4:5], s[4:5]
	v_dual_sub_f32 v1, v17, v23 :: v_dual_sub_f32 v3, v15, v21
	v_dual_sub_f32 v9, v27, v33 :: v_dual_sub_f32 v10, v24, v28
	;; [unrolled: 1-line block ×4, first 2 shown]
	s_delay_alu instid0(VALU_DEP_2) | instskip(NEXT) | instid1(VALU_DEP_3)
	v_pk_mul_f32 v[10:11], v[4:5], v[10:11]
	v_pk_mul_f32 v[8:9], v[6:7], v[8:9]
	s_delay_alu instid0(VALU_DEP_3) | instskip(NEXT) | instid1(VALU_DEP_4)
	v_pk_mul_f32 v[4:5], v[4:5], v[2:3]
	v_pk_mul_f32 v[6:7], v[6:7], v[0:1]
	s_delay_alu instid0(VALU_DEP_4) | instskip(NEXT) | instid1(VALU_DEP_4)
	v_cvt_pk_bf16_f32 v3, v10, v11
	v_cvt_pk_bf16_f32 v2, v8, v9
	s_delay_alu instid0(VALU_DEP_4) | instskip(NEXT) | instid1(VALU_DEP_4)
	v_cvt_pk_bf16_f32 v1, v4, v5
	v_cvt_pk_bf16_f32 v0, v6, v7
	global_store_b128 v126, v[0:3], s[0:1] scale_offset
	s_wait_xcnt 0x0
	s_or_b32 exec_lo, exec_lo, s2
	s_and_saveexec_b32 s2, vcc_lo
	s_cbranch_execz .LBB37_27
.LBB37_32:
	s_mov_b32 s2, s12
	s_mov_b32 s3, s12
	v_mov_b64_e32 v[10:11], s[12:13]
	v_mov_b64_e32 v[8:9], s[2:3]
	v_dual_sub_f32 v1, v35, v41 :: v_dual_sub_f32 v4, v42, v46
	v_dual_sub_f32 v3, v31, v39 :: v_dual_sub_f32 v7, v37, v45
	;; [unrolled: 1-line block ×3, first 2 shown]
	v_sub_f32_e32 v2, v30, v38
	v_sub_f32_e32 v0, v34, v40
	s_delay_alu instid0(VALU_DEP_3) | instskip(NEXT) | instid1(VALU_DEP_4)
	v_pk_mul_f32 v[4:5], v[10:11], v[4:5]
	v_pk_mul_f32 v[6:7], v[8:9], v[6:7]
	s_delay_alu instid0(VALU_DEP_4) | instskip(NEXT) | instid1(VALU_DEP_4)
	v_pk_mul_f32 v[8:9], v[8:9], v[2:3]
	v_pk_mul_f32 v[10:11], v[10:11], v[0:1]
	s_delay_alu instid0(VALU_DEP_4) | instskip(NEXT) | instid1(VALU_DEP_4)
	v_cvt_pk_bf16_f32 v2, v4, v5
	v_cvt_pk_bf16_f32 v3, v6, v7
	s_delay_alu instid0(VALU_DEP_4) | instskip(NEXT) | instid1(VALU_DEP_4)
	v_cvt_pk_bf16_f32 v1, v8, v9
	v_cvt_pk_bf16_f32 v0, v10, v11
	global_store_b128 v130, v[0:3], s[0:1] scale_offset
	s_sendmsg sendmsg(MSG_DEALLOC_VGPRS)
	s_endpgm
	.section	.rodata,"a",@progbits
	.p2align	6, 0x0
	.amdhsa_kernel _Z30fast_hadamard_transform_kernelI37fast_hadamard_transform_kernel_traitsILi256ELi14E14__hip_bfloat16EEv18HadamardParamsBase
		.amdhsa_group_segment_fixed_size 0
		.amdhsa_private_segment_fixed_size 0
		.amdhsa_kernarg_size 312
		.amdhsa_user_sgpr_count 2
		.amdhsa_user_sgpr_dispatch_ptr 0
		.amdhsa_user_sgpr_queue_ptr 0
		.amdhsa_user_sgpr_kernarg_segment_ptr 1
		.amdhsa_user_sgpr_dispatch_id 0
		.amdhsa_user_sgpr_kernarg_preload_length 0
		.amdhsa_user_sgpr_kernarg_preload_offset 0
		.amdhsa_user_sgpr_private_segment_size 0
		.amdhsa_wavefront_size32 1
		.amdhsa_uses_dynamic_stack 0
		.amdhsa_enable_private_segment 0
		.amdhsa_system_sgpr_workgroup_id_x 1
		.amdhsa_system_sgpr_workgroup_id_y 0
		.amdhsa_system_sgpr_workgroup_id_z 0
		.amdhsa_system_sgpr_workgroup_info 0
		.amdhsa_system_vgpr_workitem_id 0
		.amdhsa_next_free_vgpr 133
		.amdhsa_next_free_sgpr 22
		.amdhsa_named_barrier_count 0
		.amdhsa_reserve_vcc 1
		.amdhsa_float_round_mode_32 0
		.amdhsa_float_round_mode_16_64 0
		.amdhsa_float_denorm_mode_32 3
		.amdhsa_float_denorm_mode_16_64 3
		.amdhsa_fp16_overflow 0
		.amdhsa_memory_ordered 1
		.amdhsa_forward_progress 1
		.amdhsa_inst_pref_size 123
		.amdhsa_round_robin_scheduling 0
		.amdhsa_exception_fp_ieee_invalid_op 0
		.amdhsa_exception_fp_denorm_src 0
		.amdhsa_exception_fp_ieee_div_zero 0
		.amdhsa_exception_fp_ieee_overflow 0
		.amdhsa_exception_fp_ieee_underflow 0
		.amdhsa_exception_fp_ieee_inexact 0
		.amdhsa_exception_int_div_zero 0
	.end_amdhsa_kernel
	.section	.text._Z30fast_hadamard_transform_kernelI37fast_hadamard_transform_kernel_traitsILi256ELi14E14__hip_bfloat16EEv18HadamardParamsBase,"axG",@progbits,_Z30fast_hadamard_transform_kernelI37fast_hadamard_transform_kernel_traitsILi256ELi14E14__hip_bfloat16EEv18HadamardParamsBase,comdat
.Lfunc_end37:
	.size	_Z30fast_hadamard_transform_kernelI37fast_hadamard_transform_kernel_traitsILi256ELi14E14__hip_bfloat16EEv18HadamardParamsBase, .Lfunc_end37-_Z30fast_hadamard_transform_kernelI37fast_hadamard_transform_kernel_traitsILi256ELi14E14__hip_bfloat16EEv18HadamardParamsBase
                                        ; -- End function
	.set _Z30fast_hadamard_transform_kernelI37fast_hadamard_transform_kernel_traitsILi256ELi14E14__hip_bfloat16EEv18HadamardParamsBase.num_vgpr, 133
	.set _Z30fast_hadamard_transform_kernelI37fast_hadamard_transform_kernel_traitsILi256ELi14E14__hip_bfloat16EEv18HadamardParamsBase.num_agpr, 0
	.set _Z30fast_hadamard_transform_kernelI37fast_hadamard_transform_kernel_traitsILi256ELi14E14__hip_bfloat16EEv18HadamardParamsBase.numbered_sgpr, 22
	.set _Z30fast_hadamard_transform_kernelI37fast_hadamard_transform_kernel_traitsILi256ELi14E14__hip_bfloat16EEv18HadamardParamsBase.num_named_barrier, 0
	.set _Z30fast_hadamard_transform_kernelI37fast_hadamard_transform_kernel_traitsILi256ELi14E14__hip_bfloat16EEv18HadamardParamsBase.private_seg_size, 0
	.set _Z30fast_hadamard_transform_kernelI37fast_hadamard_transform_kernel_traitsILi256ELi14E14__hip_bfloat16EEv18HadamardParamsBase.uses_vcc, 1
	.set _Z30fast_hadamard_transform_kernelI37fast_hadamard_transform_kernel_traitsILi256ELi14E14__hip_bfloat16EEv18HadamardParamsBase.uses_flat_scratch, 0
	.set _Z30fast_hadamard_transform_kernelI37fast_hadamard_transform_kernel_traitsILi256ELi14E14__hip_bfloat16EEv18HadamardParamsBase.has_dyn_sized_stack, 0
	.set _Z30fast_hadamard_transform_kernelI37fast_hadamard_transform_kernel_traitsILi256ELi14E14__hip_bfloat16EEv18HadamardParamsBase.has_recursion, 0
	.set _Z30fast_hadamard_transform_kernelI37fast_hadamard_transform_kernel_traitsILi256ELi14E14__hip_bfloat16EEv18HadamardParamsBase.has_indirect_call, 0
	.section	.AMDGPU.csdata,"",@progbits
; Kernel info:
; codeLenInByte = 15644
; TotalNumSgprs: 24
; NumVgprs: 133
; ScratchSize: 0
; MemoryBound: 0
; FloatMode: 240
; IeeeMode: 1
; LDSByteSize: 0 bytes/workgroup (compile time only)
; SGPRBlocks: 0
; VGPRBlocks: 8
; NumSGPRsForWavesPerEU: 24
; NumVGPRsForWavesPerEU: 133
; NamedBarCnt: 0
; Occupancy: 7
; WaveLimiterHint : 0
; COMPUTE_PGM_RSRC2:SCRATCH_EN: 0
; COMPUTE_PGM_RSRC2:USER_SGPR: 2
; COMPUTE_PGM_RSRC2:TRAP_HANDLER: 0
; COMPUTE_PGM_RSRC2:TGID_X_EN: 1
; COMPUTE_PGM_RSRC2:TGID_Y_EN: 0
; COMPUTE_PGM_RSRC2:TGID_Z_EN: 0
; COMPUTE_PGM_RSRC2:TIDIG_COMP_CNT: 0
	.section	.text._Z30fast_hadamard_transform_kernelI37fast_hadamard_transform_kernel_traitsILi256ELi15E14__hip_bfloat16EEv18HadamardParamsBase,"axG",@progbits,_Z30fast_hadamard_transform_kernelI37fast_hadamard_transform_kernel_traitsILi256ELi15E14__hip_bfloat16EEv18HadamardParamsBase,comdat
	.protected	_Z30fast_hadamard_transform_kernelI37fast_hadamard_transform_kernel_traitsILi256ELi15E14__hip_bfloat16EEv18HadamardParamsBase ; -- Begin function _Z30fast_hadamard_transform_kernelI37fast_hadamard_transform_kernel_traitsILi256ELi15E14__hip_bfloat16EEv18HadamardParamsBase
	.globl	_Z30fast_hadamard_transform_kernelI37fast_hadamard_transform_kernel_traitsILi256ELi15E14__hip_bfloat16EEv18HadamardParamsBase
	.p2align	8
	.type	_Z30fast_hadamard_transform_kernelI37fast_hadamard_transform_kernel_traitsILi256ELi15E14__hip_bfloat16EEv18HadamardParamsBase,@function
_Z30fast_hadamard_transform_kernelI37fast_hadamard_transform_kernel_traitsILi256ELi15E14__hip_bfloat16EEv18HadamardParamsBase: ; @_Z30fast_hadamard_transform_kernelI37fast_hadamard_transform_kernel_traitsILi256ELi15E14__hip_bfloat16EEv18HadamardParamsBase
; %bb.0:
	s_clause 0x1
	s_load_b128 s[24:27], s[0:1], 0x10
	s_load_b32 s17, s[0:1], 0x4
	s_bfe_u32 s2, ttmp6, 0x4000c
	s_load_b128 s[20:23], s[0:1], 0x28
	s_add_co_i32 s5, s2, 1
	s_load_b32 s2, s[0:1], 0x44
	s_and_b32 s3, ttmp6, 15
	s_mul_i32 s5, ttmp9, s5
	s_getreg_b32 s4, hwreg(HW_REG_IB_STS2, 6, 4)
	s_add_co_i32 s3, s3, s5
	s_cmp_eq_u32 s4, 0
	v_dual_mov_b32 v3, 0 :: v_dual_lshlrev_b32 v6, 3, v0
	s_cselect_b32 s28, ttmp9, s3
	v_dual_mov_b32 v1, 0 :: v_dual_mov_b32 v2, 0
	s_ashr_i32 s29, s28, 31
	v_dual_mov_b32 v4, 0 :: v_dual_mov_b32 v5, 0
	v_dual_mov_b32 v7, 0 :: v_dual_mov_b32 v9, 0
	s_wait_kmcnt 0x0
	s_mul_u64 s[4:5], s[24:25], s[28:29]
	v_cmp_gt_u32_e64 s16, s17, v6
	v_dual_mov_b32 v6, 0 :: v_dual_mov_b32 v8, 0
	s_lshl_b64 s[4:5], s[4:5], 1
	s_delay_alu instid0(SALU_CYCLE_1)
	s_add_nc_u64 s[18:19], s[20:21], s[4:5]
	s_and_saveexec_b32 s3, s16
	s_cbranch_execz .LBB38_2
; %bb.1:
	global_load_b128 v[8:11], v0, s[18:19] scale_offset
	s_wait_loadcnt 0x0
	v_dual_lshlrev_b32 v6, 16, v8 :: v_dual_lshlrev_b32 v7, 16, v9
	v_and_b32_e32 v8, 0xffff0000, v8
	v_and_b32_e32 v9, 0xffff0000, v9
	v_dual_lshlrev_b32 v4, 16, v10 :: v_dual_lshlrev_b32 v2, 16, v11
	v_and_b32_e32 v5, 0xffff0000, v10
	v_and_b32_e32 v3, 0xffff0000, v11
.LBB38_2:
	s_or_b32 exec_lo, exec_lo, s3
	s_and_b32 s20, 0xffff, s2
	v_dual_mov_b32 v11, 0 :: v_dual_mov_b32 v10, 0
	s_set_vgpr_msb 64                       ;  msbs: dst=1 src0=0 src1=0 src2=0
	v_add_nc_u32_e32 v32 /*v288*/, s20, v0
	s_set_vgpr_msb 4                        ;  msbs: dst=0 src0=0 src1=1 src2=0
	v_dual_mov_b32 v14, 0 :: v_dual_mov_b32 v15, 0
	v_dual_mov_b32 v13, 0 :: v_dual_mov_b32 v12, 0
	s_delay_alu instid0(VALU_DEP_3) | instskip(SKIP_1) | instid1(VALU_DEP_1)
	v_lshlrev_b32_e32 v16, 3, v32 /*v288*/
	s_set_vgpr_msb 0                        ;  msbs: dst=0 src0=0 src1=0 src2=0
	v_cmp_gt_u32_e64 s15, s17, v16
	v_mov_b32_e32 v16, 0
	s_and_saveexec_b32 s2, s15
	s_cbranch_execz .LBB38_4
; %bb.3:
	s_set_vgpr_msb 1                        ;  msbs: dst=0 src0=1 src1=0 src2=0
	global_load_b128 v[16:19], v32 /*v288*/, s[18:19] scale_offset
	s_wait_loadcnt 0x0
	v_dual_lshlrev_b32 v13, 16, v16 :: v_dual_lshlrev_b32 v14, 16, v17
	v_and_b32_e32 v16, 0xffff0000, v16
	v_and_b32_e32 v15, 0xffff0000, v17
	v_dual_lshlrev_b32 v10, 16, v18 :: v_dual_lshlrev_b32 v1, 16, v19
	v_and_b32_e32 v12, 0xffff0000, v18
	v_and_b32_e32 v11, 0xffff0000, v19
.LBB38_4:
	s_or_b32 exec_lo, exec_lo, s2
	s_set_vgpr_msb 0x44                     ;  msbs: dst=1 src0=0 src1=1 src2=0
	v_add_nc_u32_e32 v31 /*v287*/, s20, v32 /*v288*/
	s_set_vgpr_msb 4                        ;  msbs: dst=0 src0=0 src1=1 src2=0
	v_dual_mov_b32 v17, 0 :: v_dual_mov_b32 v19, 0
	v_dual_mov_b32 v20, 0 :: v_dual_mov_b32 v18, 0
	s_delay_alu instid0(VALU_DEP_3) | instskip(SKIP_3) | instid1(VALU_DEP_3)
	v_dual_lshlrev_b32 v25, 3, v31 /*v287*/ :: v_dual_mov_b32 v21, 0
	v_dual_mov_b32 v23, 0 :: v_dual_mov_b32 v24, 0
	v_mov_b32_e32 v22, 0
	s_set_vgpr_msb 0                        ;  msbs: dst=0 src0=0 src1=0 src2=0
	v_cmp_gt_u32_e64 s14, s17, v25
	v_mov_b32_e32 v25, 0
	s_and_saveexec_b32 s2, s14
	s_cbranch_execz .LBB38_6
; %bb.5:
	s_set_vgpr_msb 1                        ;  msbs: dst=0 src0=1 src1=0 src2=0
	global_load_b128 v[26:29], v31 /*v287*/, s[18:19] scale_offset
	s_wait_loadcnt 0x0
	v_dual_lshlrev_b32 v22, 16, v26 :: v_dual_lshlrev_b32 v23, 16, v27
	v_and_b32_e32 v25, 0xffff0000, v26
	v_and_b32_e32 v24, 0xffff0000, v27
	v_dual_lshlrev_b32 v18, 16, v28 :: v_dual_lshlrev_b32 v19, 16, v29
	v_and_b32_e32 v21, 0xffff0000, v28
	v_and_b32_e32 v20, 0xffff0000, v29
.LBB38_6:
	s_or_b32 exec_lo, exec_lo, s2
	s_set_vgpr_msb 0x44                     ;  msbs: dst=1 src0=0 src1=1 src2=0
	v_add_nc_u32_e32 v30 /*v286*/, s20, v31 /*v287*/
	s_set_vgpr_msb 4                        ;  msbs: dst=0 src0=0 src1=1 src2=0
	v_dual_mov_b32 v27, 0 :: v_dual_mov_b32 v26, 0
	v_dual_mov_b32 v30, 0 :: v_dual_mov_b32 v31, 0
	s_delay_alu instid0(VALU_DEP_3) | instskip(SKIP_2) | instid1(VALU_DEP_2)
	v_dual_lshlrev_b32 v32, 3, v30 /*v286*/ :: v_dual_mov_b32 v28, 0
	v_mov_b32_e32 v29, 0
	s_set_vgpr_msb 0                        ;  msbs: dst=0 src0=0 src1=0 src2=0
	v_cmp_gt_u32_e64 s13, s17, v32
	v_mov_b32_e32 v32, 0
	s_and_saveexec_b32 s2, s13
	s_cbranch_execz .LBB38_8
; %bb.7:
	s_set_vgpr_msb 1                        ;  msbs: dst=0 src0=1 src1=0 src2=0
	global_load_b128 v[32:35], v30 /*v286*/, s[18:19] scale_offset
	s_wait_loadcnt 0x0
	v_dual_lshlrev_b32 v29, 16, v32 :: v_dual_lshlrev_b32 v30, 16, v33
	v_and_b32_e32 v32, 0xffff0000, v32
	v_and_b32_e32 v31, 0xffff0000, v33
	v_dual_lshlrev_b32 v26, 16, v34 :: v_dual_lshlrev_b32 v17, 16, v35
	v_and_b32_e32 v28, 0xffff0000, v34
	v_and_b32_e32 v27, 0xffff0000, v35
.LBB38_8:
	s_or_b32 exec_lo, exec_lo, s2
	s_set_vgpr_msb 0x44                     ;  msbs: dst=1 src0=0 src1=1 src2=0
	v_add_nc_u32_e32 v29 /*v285*/, s20, v30 /*v286*/
	s_set_vgpr_msb 4                        ;  msbs: dst=0 src0=0 src1=1 src2=0
	v_dual_mov_b32 v33, 0 :: v_dual_mov_b32 v35, 0
	v_dual_mov_b32 v36, 0 :: v_dual_mov_b32 v34, 0
	s_delay_alu instid0(VALU_DEP_3) | instskip(SKIP_3) | instid1(VALU_DEP_3)
	v_dual_lshlrev_b32 v41, 3, v29 /*v285*/ :: v_dual_mov_b32 v37, 0
	v_dual_mov_b32 v39, 0 :: v_dual_mov_b32 v40, 0
	v_mov_b32_e32 v38, 0
	s_set_vgpr_msb 0                        ;  msbs: dst=0 src0=0 src1=0 src2=0
	v_cmp_gt_u32_e64 s12, s17, v41
	v_mov_b32_e32 v41, 0
	s_and_saveexec_b32 s2, s12
	s_cbranch_execz .LBB38_10
; %bb.9:
	s_set_vgpr_msb 1                        ;  msbs: dst=0 src0=1 src1=0 src2=0
	global_load_b128 v[42:45], v29 /*v285*/, s[18:19] scale_offset
	s_wait_loadcnt 0x0
	v_dual_lshlrev_b32 v38, 16, v42 :: v_dual_lshlrev_b32 v39, 16, v43
	v_and_b32_e32 v41, 0xffff0000, v42
	v_and_b32_e32 v40, 0xffff0000, v43
	v_dual_lshlrev_b32 v34, 16, v44 :: v_dual_lshlrev_b32 v35, 16, v45
	v_and_b32_e32 v37, 0xffff0000, v44
	v_and_b32_e32 v36, 0xffff0000, v45
.LBB38_10:
	s_or_b32 exec_lo, exec_lo, s2
	s_set_vgpr_msb 0x44                     ;  msbs: dst=1 src0=0 src1=1 src2=0
	v_add_nc_u32_e32 v28 /*v284*/, s20, v29 /*v285*/
	s_set_vgpr_msb 4                        ;  msbs: dst=0 src0=0 src1=1 src2=0
	v_dual_mov_b32 v43, 0 :: v_dual_mov_b32 v42, 0
	v_dual_mov_b32 v46, 0 :: v_dual_mov_b32 v47, 0
	s_delay_alu instid0(VALU_DEP_3) | instskip(SKIP_2) | instid1(VALU_DEP_2)
	v_dual_lshlrev_b32 v48, 3, v28 /*v284*/ :: v_dual_mov_b32 v44, 0
	v_mov_b32_e32 v45, 0
	;; [unrolled: 51-line block ×6, first 2 shown]
	s_set_vgpr_msb 0                        ;  msbs: dst=0 src0=0 src1=0 src2=0
	v_cmp_gt_u32_e64 s3, s17, v112
	v_mov_b32_e32 v112, 0
	s_and_saveexec_b32 s4, s3
	s_cbranch_execz .LBB38_28
; %bb.27:
	s_set_vgpr_msb 1                        ;  msbs: dst=0 src0=1 src1=0 src2=0
	global_load_b128 v[112:115], v20 /*v276*/, s[18:19] scale_offset
	s_wait_loadcnt 0x0
	v_dual_lshlrev_b32 v109, 16, v112 :: v_dual_lshlrev_b32 v110, 16, v113
	v_and_b32_e32 v112, 0xffff0000, v112
	v_and_b32_e32 v111, 0xffff0000, v113
	v_dual_lshlrev_b32 v106, 16, v114 :: v_dual_lshlrev_b32 v97, 16, v115
	v_and_b32_e32 v108, 0xffff0000, v114
	v_and_b32_e32 v107, 0xffff0000, v115
.LBB38_28:
	s_or_b32 exec_lo, exec_lo, s4
	s_set_vgpr_msb 0x44                     ;  msbs: dst=1 src0=0 src1=1 src2=0
	v_add_nc_u32_e32 v18 /*v274*/, s20, v20 /*v276*/
	s_set_vgpr_msb 4                        ;  msbs: dst=0 src0=0 src1=1 src2=0
	v_dual_mov_b32 v113, 0 :: v_dual_mov_b32 v115, 0
	v_dual_mov_b32 v116, 0 :: v_dual_mov_b32 v114, 0
	s_delay_alu instid0(VALU_DEP_3) | instskip(SKIP_3) | instid1(VALU_DEP_3)
	v_dual_lshlrev_b32 v121, 3, v18 /*v274*/ :: v_dual_mov_b32 v117, 0
	v_dual_mov_b32 v119, 0 :: v_dual_mov_b32 v120, 0
	v_mov_b32_e32 v118, 0
	s_set_vgpr_msb 0                        ;  msbs: dst=0 src0=0 src1=0 src2=0
	v_cmp_gt_u32_e64 s4, s17, v121
	v_mov_b32_e32 v121, 0
	s_and_saveexec_b32 s21, s4
	s_cbranch_execz .LBB38_30
; %bb.29:
	s_set_vgpr_msb 1                        ;  msbs: dst=0 src0=1 src1=0 src2=0
	global_load_b128 v[122:125], v18 /*v274*/, s[18:19] scale_offset
	s_wait_loadcnt 0x0
	v_dual_lshlrev_b32 v118, 16, v122 :: v_dual_lshlrev_b32 v119, 16, v123
	v_and_b32_e32 v121, 0xffff0000, v122
	v_and_b32_e32 v120, 0xffff0000, v123
	v_dual_lshlrev_b32 v114, 16, v124 :: v_dual_lshlrev_b32 v115, 16, v125
	v_and_b32_e32 v117, 0xffff0000, v124
	v_and_b32_e32 v116, 0xffff0000, v125
.LBB38_30:
	s_or_b32 exec_lo, exec_lo, s21
	s_set_vgpr_msb 0x44                     ;  msbs: dst=1 src0=0 src1=1 src2=0
	v_add_nc_u32_e32 v23 /*v279*/, s20, v18 /*v274*/
	s_load_b32 s20, s[0:1], 0x20
	s_set_vgpr_msb 4                        ;  msbs: dst=0 src0=0 src1=1 src2=0
	v_dual_mov_b32 v126, 0 :: v_dual_mov_b32 v128, 0
	v_dual_mov_b32 v125, 0 :: v_dual_mov_b32 v127, 0
	v_dual_mov_b32 v123, 0 :: v_dual_lshlrev_b32 v122, 3, v23 /*v279*/
	v_mov_b32_e32 v124, 0
	s_set_vgpr_msb 0                        ;  msbs: dst=0 src0=0 src1=0 src2=0
	s_delay_alu instid0(VALU_DEP_2)
	v_cmp_gt_u32_e32 vcc_lo, s17, v122
	v_mov_b32_e32 v122, 0
	s_wait_xcnt 0x0
	s_and_saveexec_b32 s0, vcc_lo
	s_cbranch_execz .LBB38_32
; %bb.31:
	s_set_vgpr_msb 1                        ;  msbs: dst=0 src0=1 src1=0 src2=0
	global_load_b128 v[128:131], v23 /*v279*/, s[18:19] scale_offset
	s_wait_loadcnt 0x0
	v_dual_lshlrev_b32 v125, 16, v128 :: v_dual_lshlrev_b32 v126, 16, v129
	v_and_b32_e32 v127, 0xffff0000, v128
	v_and_b32_e32 v128, 0xffff0000, v129
	v_dual_lshlrev_b32 v122, 16, v130 :: v_dual_lshlrev_b32 v113, 16, v131
	v_and_b32_e32 v124, 0xffff0000, v130
	v_and_b32_e32 v123, 0xffff0000, v131
.LBB38_32:
	s_or_b32 exec_lo, exec_lo, s0
	s_set_vgpr_msb 0                        ;  msbs: dst=0 src0=0 src1=0 src2=0
	v_dual_add_f32 v129, v6, v8 :: v_dual_add_f32 v130, v7, v9
	v_dual_add_f32 v131, v4, v5 :: v_dual_add_f32 v132, v2, v3
	;; [unrolled: 1-line block ×3, first 2 shown]
	s_delay_alu instid0(VALU_DEP_3) | instskip(NEXT) | instid1(VALU_DEP_3)
	v_dual_add_f32 v141, v23, v24 :: v_dual_add_f32 v134, v130, v129
	v_add_f32_e32 v136, v132, v131
	v_add_f32_e32 v135, v14, v15
	v_dual_add_f32 v139, v1, v11 :: v_dual_add_f32 v142, v18, v21
	s_delay_alu instid0(VALU_DEP_3) | instskip(NEXT) | instid1(VALU_DEP_3)
	v_dual_add_f32 v143, v19, v20 :: v_dual_add_f32 v138, v136, v134
	v_dual_add_f32 v137, v135, v133 :: v_dual_sub_f32 v134, v134, v136
	v_dual_add_f32 v136, v10, v12 :: v_dual_add_f32 v147, v17, v27
	s_delay_alu instid0(VALU_DEP_3) | instskip(SKIP_1) | instid1(VALU_DEP_3)
	v_dual_add_f32 v146, v26, v28 :: v_dual_add_f32 v150, v143, v142
	v_dual_add_f32 v144, v29, v32 :: v_dual_add_f32 v145, v30, v31
	;; [unrolled: 1-line block ×3, first 2 shown]
	s_delay_alu instid0(VALU_DEP_3)
	v_dual_add_f32 v149, v141, v140 :: v_dual_add_f32 v152, v147, v146
	v_dual_add_f32 v155, v39, v40 :: v_dual_add_f32 v156, v34, v37
	;; [unrolled: 1-line block ×3, first 2 shown]
	v_add_f32_e32 v159, v46, v47
	v_dual_add_f32 v160, v42, v44 :: v_dual_add_f32 v161, v33, v43
	v_dual_add_f32 v151, v145, v144 :: v_dual_add_f32 v153, v148, v137
	v_dual_sub_f32 v137, v137, v148 :: v_dual_add_f32 v148, v150, v149
	v_sub_f32_e32 v149, v149, v150
	v_dual_add_f32 v150, v155, v154 :: v_dual_add_f32 v162, v157, v156
	v_dual_add_f32 v163, v159, v158 :: v_dual_add_f32 v164, v161, v160
	v_dual_add_f32 v165, v152, v151 :: v_dual_sub_f32 v151, v151, v152
	s_delay_alu instid0(VALU_DEP_3) | instskip(SKIP_1) | instid1(VALU_DEP_4)
	v_add_f32_e32 v152, v162, v150
	v_dual_sub_f32 v150, v150, v162 :: v_dual_add_f32 v167, v55, v56
	v_dual_add_f32 v162, v164, v163 :: v_dual_add_f32 v166, v57, v54
	v_dual_add_f32 v168, v50, v53 :: v_dual_add_f32 v169, v51, v52
	v_dual_sub_f32 v163, v163, v164 :: v_dual_add_f32 v170, v62, v63
	v_dual_add_f32 v164, v64, v61 :: v_dual_add_f32 v173, v58, v60
	s_delay_alu instid0(VALU_DEP_4) | instskip(NEXT) | instid1(VALU_DEP_4)
	v_dual_add_f32 v174, v49, v59 :: v_dual_add_f32 v171, v167, v166
	v_add_f32_e32 v172, v169, v168
	s_delay_alu instid0(VALU_DEP_3) | instskip(SKIP_1) | instid1(VALU_DEP_4)
	v_dual_add_f32 v175, v170, v164 :: v_dual_add_f32 v176, v73, v70
	v_dual_add_f32 v177, v71, v72 :: v_dual_add_f32 v178, v66, v69
	;; [unrolled: 1-line block ×3, first 2 shown]
	s_delay_alu instid0(VALU_DEP_4) | instskip(NEXT) | instid1(VALU_DEP_2)
	v_dual_add_f32 v181, v172, v171 :: v_dual_sub_f32 v171, v171, v172
	v_dual_add_f32 v172, v177, v176 :: v_dual_add_f32 v182, v179, v178
	s_delay_alu instid0(VALU_DEP_3) | instskip(SKIP_1) | instid1(VALU_DEP_3)
	v_dual_add_f32 v183, v180, v175 :: v_dual_sub_f32 v175, v175, v180
	v_dual_add_f32 v180, v80, v77 :: v_dual_add_f32 v184, v78, v79
	v_dual_add_f32 v185, v182, v172 :: v_dual_sub_f32 v172, v172, v182
	v_dual_add_f32 v182, v74, v76 :: v_dual_add_f32 v186, v65, v75
	s_delay_alu instid0(VALU_DEP_3) | instskip(SKIP_4) | instid1(VALU_DEP_3)
	v_dual_add_f32 v187, v184, v180 :: v_dual_add_f32 v188, v89, v86
	v_dual_add_f32 v189, v88, v87 :: v_dual_add_f32 v190, v82, v85
	;; [unrolled: 1-line block ×6, first 2 shown]
	s_delay_alu instid0(VALU_DEP_2) | instskip(NEXT) | instid1(VALU_DEP_3)
	v_dual_add_f32 v199, v193, v192 :: v_dual_add_f32 v200, v195, v194
	v_dual_add_f32 v201, v196, v187 :: v_dual_sub_f32 v187, v187, v196
	s_delay_alu instid0(VALU_DEP_3) | instskip(NEXT) | instid1(VALU_DEP_3)
	v_dual_add_f32 v196, v198, v197 :: v_dual_sub_f32 v197, v197, v198
	v_dual_add_f32 v198, v200, v199 :: v_dual_add_f32 v202, v105, v102
	v_dual_add_f32 v203, v104, v103 :: v_dual_add_f32 v204, v98, v101
	v_add_f32_e32 v205, v99, v100
	v_dual_sub_f32 v199, v199, v200 :: v_dual_add_f32 v210, v97, v107
	v_dual_add_f32 v200, v112, v109 :: v_dual_add_f32 v206, v111, v110
	s_delay_alu instid0(VALU_DEP_3) | instskip(SKIP_1) | instid1(VALU_DEP_3)
	v_dual_add_f32 v208, v205, v204 :: v_dual_add_f32 v207, v203, v202
	v_dual_add_f32 v209, v106, v108 :: v_dual_add_f32 v212, v121, v118
	;; [unrolled: 1-line block ×4, first 2 shown]
	s_delay_alu instid0(VALU_DEP_3) | instskip(SKIP_1) | instid1(VALU_DEP_3)
	v_dual_add_f32 v216, v210, v209 :: v_dual_add_f32 v217, v208, v207
	v_sub_f32_e32 v207, v207, v208
	v_dual_add_f32 v208, v213, v212 :: v_dual_add_f32 v218, v215, v214
	s_delay_alu instid0(VALU_DEP_3) | instskip(SKIP_1) | instid1(VALU_DEP_3)
	v_dual_add_f32 v219, v216, v211 :: v_dual_sub_f32 v211, v211, v216
	v_dual_add_f32 v216, v127, v125 :: v_dual_add_f32 v220, v128, v126
	v_dual_add_f32 v221, v218, v208 :: v_dual_sub_f32 v208, v208, v218
	v_dual_add_f32 v218, v124, v122 :: v_dual_add_f32 v222, v113, v123
	s_delay_alu instid0(VALU_DEP_3) | instskip(SKIP_2) | instid1(VALU_DEP_4)
	v_dual_add_f32 v223, v220, v216 :: v_dual_sub_f32 v7, v7, v9
	v_sub_f32_e32 v6, v6, v8
	v_dual_sub_f32 v2, v2, v3 :: v_dual_sub_f32 v8, v13, v16
	v_dual_sub_f32 v3, v4, v5 :: v_dual_add_f32 v4, v222, v218
	v_sub_f32_e32 v1, v1, v11
	v_sub_f32_e32 v5, v14, v15
	s_delay_alu instid0(VALU_DEP_3) | instskip(NEXT) | instid1(VALU_DEP_4)
	v_dual_add_f32 v9, v6, v7 :: v_dual_add_f32 v13, v3, v2
	v_dual_sub_f32 v10, v10, v12 :: v_dual_add_f32 v11, v4, v223
	s_delay_alu instid0(VALU_DEP_3) | instskip(NEXT) | instid1(VALU_DEP_3)
	v_dual_sub_f32 v4, v223, v4 :: v_dual_add_f32 v14, v8, v5
	v_dual_sub_f32 v19, v19, v20 :: v_dual_add_f32 v12, v13, v9
	s_delay_alu instid0(VALU_DEP_3) | instskip(SKIP_2) | instid1(VALU_DEP_3)
	v_dual_sub_f32 v16, v23, v24 :: v_dual_add_f32 v15, v10, v1
	v_dual_sub_f32 v23, v29, v32 :: v_dual_sub_f32 v22, v22, v25
	v_dual_sub_f32 v18, v18, v21 :: v_dual_sub_f32 v17, v17, v27
	v_dual_sub_f32 v9, v9, v13 :: v_dual_add_f32 v13, v15, v14
	v_sub_f32_e32 v14, v14, v15
	s_delay_alu instid0(VALU_DEP_3)
	v_add_f32_e32 v20, v18, v19
	v_sub_f32_e32 v24, v26, v28
	v_dual_sub_f32 v26, v39, v40 :: v_dual_sub_f32 v21, v30, v31
	v_add_f32_e32 v15, v22, v16
	v_dual_sub_f32 v27, v38, v41 :: v_dual_sub_f32 v28, v35, v36
	v_dual_sub_f32 v29, v34, v37 :: v_dual_sub_f32 v32, v45, v48
	s_delay_alu instid0(VALU_DEP_3) | instskip(SKIP_2) | instid1(VALU_DEP_4)
	v_dual_add_f32 v25, v20, v15 :: v_dual_sub_f32 v15, v15, v20
	v_add_f32_e32 v20, v23, v21
	v_dual_add_f32 v30, v24, v17 :: v_dual_sub_f32 v31, v46, v47
	v_dual_add_f32 v34, v27, v26 :: v_dual_add_f32 v35, v29, v28
	v_dual_sub_f32 v33, v33, v43 :: v_dual_sub_f32 v36, v42, v44
	s_delay_alu instid0(VALU_DEP_3) | instskip(NEXT) | instid1(VALU_DEP_3)
	v_dual_add_f32 v37, v30, v20 :: v_dual_sub_f32 v20, v20, v30
	v_dual_add_f32 v30, v35, v34 :: v_dual_add_f32 v38, v32, v31
	s_delay_alu instid0(VALU_DEP_3) | instskip(SKIP_2) | instid1(VALU_DEP_3)
	v_dual_add_f32 v39, v36, v33 :: v_dual_sub_f32 v40, v55, v56
	v_dual_sub_f32 v41, v54, v57 :: v_dual_sub_f32 v42, v51, v52
	v_sub_f32_e32 v43, v50, v53
	v_dual_sub_f32 v34, v34, v35 :: v_dual_add_f32 v35, v39, v38
	s_delay_alu instid0(VALU_DEP_3) | instskip(NEXT) | instid1(VALU_DEP_3)
	v_dual_sub_f32 v38, v38, v39 :: v_dual_add_f32 v39, v41, v40
	v_dual_add_f32 v44, v43, v42 :: v_dual_sub_f32 v45, v62, v63
	v_sub_f32_e32 v46, v61, v64
	v_dual_sub_f32 v47, v49, v59 :: v_dual_sub_f32 v48, v58, v60
	s_delay_alu instid0(VALU_DEP_3) | instskip(NEXT) | instid1(VALU_DEP_3)
	v_dual_add_f32 v49, v44, v39 :: v_dual_sub_f32 v39, v39, v44
	v_dual_add_f32 v44, v46, v45 :: v_dual_sub_f32 v50, v71, v72
	v_dual_sub_f32 v51, v70, v73 :: v_dual_sub_f32 v52, v67, v68
	s_delay_alu instid0(VALU_DEP_4) | instskip(SKIP_1) | instid1(VALU_DEP_2)
	v_dual_sub_f32 v53, v66, v69 :: v_dual_add_f32 v54, v48, v47
	v_dual_sub_f32 v55, v78, v79 :: v_dual_sub_f32 v56, v77, v80
	v_dual_add_f32 v57, v51, v50 :: v_dual_add_f32 v58, v53, v52
	v_dual_sub_f32 v59, v65, v75 :: v_dual_sub_f32 v60, v74, v76
	s_delay_alu instid0(VALU_DEP_4) | instskip(NEXT) | instid1(VALU_DEP_3)
	v_dual_add_f32 v61, v54, v44 :: v_dual_sub_f32 v44, v44, v54
	v_dual_add_f32 v54, v58, v57 :: v_dual_add_f32 v62, v56, v55
	s_delay_alu instid0(VALU_DEP_3) | instskip(SKIP_2) | instid1(VALU_DEP_3)
	v_dual_add_f32 v63, v60, v59 :: v_dual_sub_f32 v64, v87, v88
	v_dual_sub_f32 v65, v86, v89 :: v_dual_sub_f32 v66, v83, v84
	v_dual_sub_f32 v67, v82, v85 :: v_dual_sub_f32 v57, v57, v58
	v_dual_add_f32 v58, v63, v62 :: v_dual_sub_f32 v62, v62, v63
	s_delay_alu instid0(VALU_DEP_2) | instskip(SKIP_2) | instid1(VALU_DEP_3)
	v_dual_add_f32 v63, v65, v64 :: v_dual_add_f32 v68, v67, v66
	v_dual_sub_f32 v69, v94, v95 :: v_dual_sub_f32 v70, v93, v96
	v_dual_sub_f32 v71, v81, v91 :: v_dual_sub_f32 v72, v90, v92
	v_dual_add_f32 v73, v68, v63 :: v_dual_sub_f32 v63, v63, v68
	s_delay_alu instid0(VALU_DEP_3) | instskip(SKIP_2) | instid1(VALU_DEP_2)
	v_dual_add_f32 v68, v70, v69 :: v_dual_sub_f32 v74, v103, v104
	v_dual_sub_f32 v75, v102, v105 :: v_dual_sub_f32 v76, v99, v100
	v_dual_sub_f32 v77, v98, v101 :: v_dual_sub_f32 v79, v109, v112
	v_dual_sub_f32 v78, v110, v111 :: v_dual_add_f32 v83, v75, v74
	v_dual_sub_f32 v80, v97, v107 :: v_dual_sub_f32 v81, v106, v108
	s_delay_alu instid0(VALU_DEP_3) | instskip(NEXT) | instid1(VALU_DEP_3)
	v_dual_add_f32 v82, v72, v71 :: v_dual_add_f32 v84, v77, v76
	v_add_f32_e32 v85, v79, v78
	v_sub_f32_e32 v88, v119, v120
	s_delay_alu instid0(VALU_DEP_4) | instskip(NEXT) | instid1(VALU_DEP_4)
	v_add_f32_e32 v86, v81, v80
	v_dual_add_f32 v87, v82, v68 :: v_dual_sub_f32 v68, v68, v82
	v_dual_add_f32 v82, v84, v83 :: v_dual_sub_f32 v83, v83, v84
	s_delay_alu instid0(VALU_DEP_3) | instskip(SKIP_4) | instid1(VALU_DEP_3)
	v_add_f32_e32 v84, v86, v85
	v_dual_sub_f32 v89, v118, v121 :: v_dual_sub_f32 v90, v115, v116
	v_dual_sub_f32 v91, v114, v117 :: v_dual_sub_f32 v93, v125, v127
	;; [unrolled: 1-line block ×4, first 2 shown]
	v_dual_add_f32 v86, v89, v88 :: v_dual_add_f32 v96, v91, v90
	s_delay_alu instid0(VALU_DEP_2) | instskip(SKIP_1) | instid1(VALU_DEP_3)
	v_dual_add_f32 v97, v93, v92 :: v_dual_add_f32 v98, v95, v94
	v_dual_sub_f32 v99, v131, v132 :: v_dual_sub_f32 v100, v129, v130
	v_dual_add_f32 v101, v96, v86 :: v_dual_sub_f32 v86, v86, v96
	s_delay_alu instid0(VALU_DEP_3) | instskip(NEXT) | instid1(VALU_DEP_3)
	v_dual_add_f32 v96, v98, v97 :: v_dual_sub_f32 v97, v97, v98
	v_dual_add_f32 v98, v100, v99 :: v_dual_sub_f32 v99, v100, v99
	v_dual_sub_f32 v102, v133, v135 :: v_dual_sub_f32 v104, v140, v141
	v_dual_sub_f32 v103, v142, v143 :: v_dual_sub_f32 v106, v144, v145
	v_sub_f32_e32 v105, v146, v147
	v_sub_f32_e32 v100, v136, v139
	v_dual_sub_f32 v108, v154, v155 :: v_dual_sub_f32 v109, v160, v161
	v_dual_sub_f32 v110, v158, v159 :: v_dual_sub_f32 v111, v168, v169
	s_delay_alu instid0(VALU_DEP_3)
	v_dual_add_f32 v107, v102, v100 :: v_dual_sub_f32 v100, v102, v100
	v_dual_add_f32 v102, v104, v103 :: v_dual_sub_f32 v103, v104, v103
	;; [unrolled: 1-line block ×3, first 2 shown]
	v_dual_sub_f32 v106, v156, v157 :: v_dual_sub_f32 v112, v166, v167
	v_dual_sub_f32 v115, v178, v179 :: v_dual_sub_f32 v116, v176, v177
	v_sub_f32_e32 v117, v182, v186
	s_delay_alu instid0(VALU_DEP_3)
	v_dual_add_f32 v113, v108, v106 :: v_dual_sub_f32 v106, v108, v106
	v_dual_add_f32 v108, v110, v109 :: v_dual_sub_f32 v109, v110, v109
	;; [unrolled: 1-line block ×3, first 2 shown]
	v_dual_sub_f32 v112, v173, v174 :: v_dual_sub_f32 v118, v180, v184
	v_dual_sub_f32 v121, v194, v195 :: v_dual_sub_f32 v114, v164, v170
	;; [unrolled: 1-line block ×3, first 2 shown]
	v_sub_f32_e32 v122, v192, v193
	s_delay_alu instid0(VALU_DEP_3)
	v_dual_sub_f32 v123, v204, v205 :: v_dual_add_f32 v119, v114, v112
	v_dual_sub_f32 v112, v114, v112 :: v_dual_add_f32 v114, v116, v115
	v_dual_sub_f32 v115, v116, v115 :: v_dual_add_f32 v116, v118, v117
	v_sub_f32_e32 v117, v118, v117
	v_dual_sub_f32 v118, v190, v191 :: v_dual_sub_f32 v126, v200, v206
	v_sub_f32_e32 v127, v214, v215
	v_dual_sub_f32 v129, v218, v222 :: v_dual_sub_f32 v130, v216, v220
	v_sub_f32_e32 v2, v3, v2
	s_delay_alu instid0(VALU_DEP_4)
	v_dual_add_f32 v125, v120, v118 :: v_dual_sub_f32 v118, v120, v118
	v_dual_add_f32 v120, v122, v121 :: v_dual_sub_f32 v121, v122, v121
	;; [unrolled: 1-line block ×3, first 2 shown]
	v_dual_sub_f32 v124, v209, v210 :: v_dual_sub_f32 v128, v212, v213
	v_dual_sub_f32 v3, v6, v7 :: v_dual_sub_f32 v5, v8, v5
	v_sub_f32_e32 v1, v10, v1
	s_delay_alu instid0(VALU_DEP_3) | instskip(NEXT) | instid1(VALU_DEP_4)
	v_dual_add_f32 v131, v126, v124 :: v_dual_sub_f32 v124, v126, v124
	v_dual_add_f32 v126, v128, v127 :: v_dual_sub_f32 v127, v128, v127
	;; [unrolled: 1-line block ×4, first 2 shown]
	v_dual_sub_f32 v6, v18, v19 :: v_dual_add_f32 v10, v5, v1
	v_dual_sub_f32 v7, v22, v16 :: v_dual_sub_f32 v5, v5, v1
	v_sub_f32_e32 v1, v24, v17
	v_dual_sub_f32 v2, v23, v21 :: v_dual_sub_f32 v19, v32, v31
	s_delay_alu instid0(VALU_DEP_3) | instskip(SKIP_2) | instid1(VALU_DEP_4)
	v_dual_add_f32 v16, v7, v6 :: v_dual_sub_f32 v6, v7, v6
	v_dual_sub_f32 v7, v29, v28 :: v_dual_sub_f32 v17, v27, v26
	v_sub_f32_e32 v18, v36, v33
	v_dual_add_f32 v21, v2, v1 :: v_dual_sub_f32 v22, v2, v1
	v_dual_sub_f32 v1, v43, v42 :: v_dual_sub_f32 v2, v41, v40
	s_delay_alu instid0(VALU_DEP_4) | instskip(NEXT) | instid1(VALU_DEP_4)
	v_dual_add_f32 v23, v17, v7 :: v_dual_sub_f32 v7, v17, v7
	v_dual_add_f32 v17, v19, v18 :: v_dual_sub_f32 v18, v19, v18
	v_dual_sub_f32 v19, v48, v47 :: v_dual_sub_f32 v24, v46, v45
	v_dual_sub_f32 v26, v53, v52 :: v_dual_sub_f32 v27, v51, v50
	v_dual_add_f32 v28, v2, v1 :: v_dual_sub_f32 v29, v2, v1
	s_delay_alu instid0(VALU_DEP_3) | instskip(NEXT) | instid1(VALU_DEP_3)
	v_dual_add_f32 v31, v24, v19 :: v_dual_sub_f32 v19, v24, v19
	v_dual_add_f32 v24, v27, v26 :: v_dual_sub_f32 v1, v60, v59
	v_dual_sub_f32 v32, v56, v55 :: v_dual_sub_f32 v33, v67, v66
	v_dual_sub_f32 v36, v65, v64 :: v_dual_sub_f32 v26, v27, v26
	v_mbcnt_lo_u32_b32 v2, -1, 0
	s_delay_alu instid0(VALU_DEP_3) | instskip(NEXT) | instid1(VALU_DEP_3)
	v_dual_add_f32 v27, v32, v1 :: v_dual_sub_f32 v32, v32, v1
	v_add_f32_e32 v40, v36, v33
	v_dual_sub_f32 v41, v72, v71 :: v_dual_sub_f32 v42, v70, v69
	s_delay_alu instid0(VALU_DEP_4) | instskip(SKIP_2) | instid1(VALU_DEP_3)
	v_dual_sub_f32 v43, v77, v76 :: v_dual_bitop2_b32 v1, 1, v2 bitop3:0x14
	v_dual_sub_f32 v45, v75, v74 :: v_dual_sub_f32 v33, v36, v33
	v_sub_f32_e32 v46, v81, v80
	v_cmp_gt_i32_e64 s0, 32, v1
	v_dual_add_f32 v36, v42, v41 :: v_dual_sub_f32 v41, v42, v41
	s_delay_alu instid0(VALU_DEP_4) | instskip(NEXT) | instid1(VALU_DEP_3)
	v_dual_add_f32 v42, v45, v43 :: v_dual_sub_f32 v47, v79, v78
	v_dual_cndmask_b32 v1, v2, v1, s0 :: v_dual_sub_f32 v48, v91, v90
	v_and_b32_e32 v50, 1, v0
	v_sub_f32_e32 v53, v89, v88
	s_delay_alu instid0(VALU_DEP_3) | instskip(SKIP_1) | instid1(VALU_DEP_4)
	v_dual_sub_f32 v43, v45, v43 :: v_dual_lshlrev_b32 v1, 2, v1
	v_add_f32_e32 v45, v47, v46
	v_cmp_eq_u32_e64 s0, 0, v50
	s_delay_alu instid0(VALU_DEP_4)
	v_dual_sub_f32 v46, v47, v46 :: v_dual_add_f32 v47, v53, v48
	v_sub_f32_e32 v50, v95, v94
	ds_bpermute_b32 v51, v1, v138
	ds_bpermute_b32 v52, v1, v12
	;; [unrolled: 1-line block ×7, first 2 shown]
	v_dual_sub_f32 v55, v93, v92 :: v_dual_cndmask_b32 v56, -v138, v138, s0
	v_cndmask_b32_e64 v12, -v12, v12, s0
	v_sub_f32_e32 v48, v53, v48
	v_dual_cndmask_b32 v8, -v8, v8, s0 :: v_dual_cndmask_b32 v9, -v9, v9, s0
	s_delay_alu instid0(VALU_DEP_4)
	v_dual_add_f32 v53, v55, v50 :: v_dual_sub_f32 v50, v55, v50
	v_cndmask_b32_e64 v55, -v134, v134, s0
	ds_bpermute_b32 v67, v1, v3
	ds_bpermute_b32 v69, v1, v153
	;; [unrolled: 1-line block ×4, first 2 shown]
	s_wait_dscnt 0xa
	v_add_f32_e32 v51, v56, v51
	s_wait_dscnt 0x9
	v_dual_add_f32 v12, v12, v52 :: v_dual_cndmask_b32 v52, -v98, v98, s0
	s_wait_dscnt 0x7
	v_dual_cndmask_b32 v56, -v99, v99, s0 :: v_dual_add_f32 v8, v8, v60
	ds_bpermute_b32 v72, v1, v10
	s_wait_dscnt 0x7
	v_dual_add_f32 v55, v55, v64 :: v_dual_add_f32 v52, v52, v59
	s_wait_dscnt 0x5
	v_dual_add_f32 v9, v9, v65 :: v_dual_add_f32 v56, v56, v66
	ds_bpermute_b32 v64, v1, v137
	ds_bpermute_b32 v65, v1, v14
	;; [unrolled: 1-line block ×5, first 2 shown]
	v_dual_cndmask_b32 v3, -v3, v3, s0 :: v_dual_cndmask_b32 v59, -v153, v153, s0
	v_dual_cndmask_b32 v13, -v13, v13, s0 :: v_dual_cndmask_b32 v60, -v107, v107, s0
	s_wait_dscnt 0x9
	s_delay_alu instid0(VALU_DEP_2)
	v_dual_cndmask_b32 v10, -v10, v10, s0 :: v_dual_add_f32 v3, v3, v67
	ds_bpermute_b32 v76, v1, v16
	ds_bpermute_b32 v77, v1, v149
	s_wait_dscnt 0x9
	v_dual_add_f32 v59, v59, v69 :: v_dual_add_f32 v13, v13, v70
	s_wait_dscnt 0x7
	v_dual_add_f32 v60, v60, v71 :: v_dual_add_f32 v10, v10, v72
	v_dual_cndmask_b32 v67, -v137, v137, s0 :: v_dual_cndmask_b32 v14, -v14, v14, s0
	v_dual_cndmask_b32 v69, -v100, v100, s0 :: v_dual_cndmask_b32 v5, -v5, v5, s0
	v_cndmask_b32_e64 v70, -v148, v148, s0
	ds_bpermute_b32 v71, v1, v25
	ds_bpermute_b32 v72, v1, v102
	;; [unrolled: 1-line block ×3, first 2 shown]
	s_wait_dscnt 0x8
	v_dual_add_f32 v64, v67, v64 :: v_dual_add_f32 v14, v14, v65
	s_wait_dscnt 0x7
	v_add_f32_e32 v65, v69, v66
	s_wait_dscnt 0x5
	v_dual_add_f32 v5, v5, v74 :: v_dual_add_f32 v66, v70, v75
	ds_bpermute_b32 v70, v1, v103
	ds_bpermute_b32 v74, v1, v6
	;; [unrolled: 1-line block ×5, first 2 shown]
	v_dual_cndmask_b32 v16, -v16, v16, s0 :: v_dual_cndmask_b32 v69, -v149, v149, s0
	v_dual_cndmask_b32 v25, -v25, v25, s0 :: v_dual_cndmask_b32 v67, -v102, v102, s0
	s_wait_dscnt 0x9
	s_delay_alu instid0(VALU_DEP_2)
	v_dual_cndmask_b32 v15, -v15, v15, s0 :: v_dual_add_f32 v16, v16, v76
	s_wait_dscnt 0x8
	v_add_f32_e32 v69, v69, v77
	ds_bpermute_b32 v77, v1, v21
	ds_bpermute_b32 v88, v1, v105
	;; [unrolled: 1-line block ×3, first 2 shown]
	s_wait_dscnt 0x9
	v_dual_add_f32 v25, v25, v71 :: v_dual_add_f32 v67, v67, v72
	s_wait_dscnt 0x8
	v_add_f32_e32 v15, v15, v78
	v_dual_cndmask_b32 v71, -v103, v103, s0 :: v_dual_cndmask_b32 v6, -v6, v6, s0
	v_dual_cndmask_b32 v72, -v165, v165, s0 :: v_dual_cndmask_b32 v76, -v104, v104, s0
	s_wait_dscnt 0x7
	s_delay_alu instid0(VALU_DEP_2)
	v_dual_cndmask_b32 v37, -v37, v37, s0 :: v_dual_add_f32 v70, v71, v70
	ds_bpermute_b32 v78, v1, v151
	ds_bpermute_b32 v81, v1, v20
	s_wait_dscnt 0x7
	v_dual_add_f32 v6, v6, v74 :: v_dual_add_f32 v71, v72, v75
	s_wait_dscnt 0x5
	v_dual_add_f32 v37, v37, v79 :: v_dual_add_f32 v72, v76, v80
	ds_bpermute_b32 v76, v1, v152
	ds_bpermute_b32 v80, v1, v113
	;; [unrolled: 1-line block ×3, first 2 shown]
	v_dual_cndmask_b32 v21, -v21, v21, s0 :: v_dual_cndmask_b32 v74, -v151, v151, s0
	v_dual_cndmask_b32 v20, -v20, v20, s0 :: v_dual_cndmask_b32 v75, -v105, v105, s0
	s_wait_dscnt 0x7
	s_delay_alu instid0(VALU_DEP_2)
	v_dual_cndmask_b32 v22, -v22, v22, s0 :: v_dual_add_f32 v21, v21, v77
	ds_bpermute_b32 v79, v1, v30
	ds_bpermute_b32 v90, v1, v23
	s_wait_dscnt 0x7
	v_dual_add_f32 v75, v75, v88 :: v_dual_add_f32 v22, v22, v89
	ds_bpermute_b32 v88, v1, v34
	ds_bpermute_b32 v89, v1, v106
	;; [unrolled: 1-line block ×3, first 2 shown]
	s_wait_dscnt 0x8
	v_dual_add_f32 v74, v74, v78 :: v_dual_add_f32 v20, v20, v81
	v_dual_cndmask_b32 v77, -v152, v152, s0 :: v_dual_cndmask_b32 v30, -v30, v30, s0
	v_dual_cndmask_b32 v78, -v113, v113, s0 :: v_dual_cndmask_b32 v23, -v23, v23, s0
	s_wait_dscnt 0x7
	s_delay_alu instid0(VALU_DEP_2)
	v_dual_cndmask_b32 v81, -v150, v150, s0 :: v_dual_add_f32 v76, v77, v76
	ds_bpermute_b32 v92, v1, v7
	ds_bpermute_b32 v94, v1, v35
	s_wait_dscnt 0x7
	v_dual_add_f32 v77, v78, v80 :: v_dual_add_f32 v78, v81, v91
	ds_bpermute_b32 v81, v1, v108
	ds_bpermute_b32 v91, v1, v163
	ds_bpermute_b32 v95, v1, v38
	ds_bpermute_b32 v98, v1, v109
	s_wait_dscnt 0x9
	v_dual_add_f32 v30, v30, v79 :: v_dual_add_f32 v23, v23, v90
	v_dual_cndmask_b32 v34, -v34, v34, s0 :: v_dual_cndmask_b32 v7, -v7, v7, s0
	v_dual_cndmask_b32 v79, -v106, v106, s0 :: v_dual_cndmask_b32 v35, -v35, v35, s0
	v_cndmask_b32_e64 v80, -v162, v162, s0
	ds_bpermute_b32 v90, v1, v17
	ds_bpermute_b32 v100, v1, v110
	s_wait_dscnt 0x9
	v_dual_add_f32 v79, v79, v89 :: v_dual_add_f32 v34, v34, v88
	s_wait_dscnt 0x8
	v_add_f32_e32 v80, v80, v93
	ds_bpermute_b32 v93, v1, v18
	ds_bpermute_b32 v102, v1, v28
	s_wait_dscnt 0x9
	v_dual_add_f32 v7, v7, v92 :: v_dual_cndmask_b32 v17, -v17, v17, s0
	s_wait_dscnt 0x8
	v_dual_add_f32 v35, v35, v94 :: v_dual_cndmask_b32 v88, -v108, v108, s0
	v_dual_cndmask_b32 v89, -v163, v163, s0 :: v_dual_cndmask_b32 v38, -v38, v38, s0
	v_cndmask_b32_e64 v92, -v109, v109, s0
	ds_bpermute_b32 v94, v1, v181
	ds_bpermute_b32 v99, v1, v49
	s_wait_dscnt 0x7
	v_dual_add_f32 v81, v88, v81 :: v_dual_add_f32 v38, v38, v95
	s_wait_dscnt 0x6
	v_dual_add_f32 v88, v89, v91 :: v_dual_add_f32 v89, v92, v98
	ds_bpermute_b32 v92, v1, v171
	ds_bpermute_b32 v98, v1, v111
	ds_bpermute_b32 v103, v1, v29
	ds_bpermute_b32 v104, v1, v183
	s_wait_dscnt 0x9
	v_add_f32_e32 v17, v17, v90
	v_dual_cndmask_b32 v18, -v18, v18, s0 :: v_dual_cndmask_b32 v90, -v181, v181, s0
	v_dual_cndmask_b32 v49, -v49, v49, s0 :: v_dual_cndmask_b32 v91, -v110, v110, s0
	s_wait_dscnt 0x7
	s_delay_alu instid0(VALU_DEP_2)
	v_dual_cndmask_b32 v28, -v28, v28, s0 :: v_dual_add_f32 v18, v18, v93
	ds_bpermute_b32 v95, v1, v39
	ds_bpermute_b32 v107, v1, v44
	s_wait_dscnt 0x8
	v_dual_add_f32 v91, v91, v100 :: v_dual_add_f32 v28, v28, v102
	ds_bpermute_b32 v100, v1, v61
	ds_bpermute_b32 v102, v1, v119
	s_wait_dscnt 0x8
	v_dual_add_f32 v90, v90, v94 :: v_dual_add_f32 v49, v49, v99
	v_dual_cndmask_b32 v93, -v171, v171, s0 :: v_dual_cndmask_b32 v29, -v29, v29, s0
	v_dual_cndmask_b32 v94, -v111, v111, s0 :: v_dual_cndmask_b32 v61, -v61, v61, s0
	v_cndmask_b32_e64 v99, -v183, v183, s0
	ds_bpermute_b32 v105, v1, v31
	ds_bpermute_b32 v106, v1, v175
	s_wait_dscnt 0x9
	v_dual_cndmask_b32 v39, -v39, v39, s0 :: v_dual_add_f32 v92, v93, v92
	s_wait_dscnt 0x7
	v_dual_add_f32 v93, v94, v98 :: v_dual_add_f32 v29, v29, v103
	s_wait_dscnt 0x6
	v_add_f32_e32 v94, v99, v104
	ds_bpermute_b32 v99, v1, v112
	ds_bpermute_b32 v103, v1, v19
	;; [unrolled: 1-line block ×5, first 2 shown]
	s_wait_dscnt 0xa
	v_dual_add_f32 v39, v39, v95 :: v_dual_cndmask_b32 v44, -v44, v44, s0
	s_wait_dscnt 0x8
	v_dual_cndmask_b32 v95, -v119, v119, s0 :: v_dual_add_f32 v61, v61, v100
	v_dual_cndmask_b32 v98, -v175, v175, s0 :: v_dual_cndmask_b32 v100, -v112, v112, s0
	v_cndmask_b32_e64 v31, -v31, v31, s0
	s_wait_dscnt 0x7
	s_delay_alu instid0(VALU_DEP_3)
	v_dual_add_f32 v95, v95, v102 :: v_dual_add_f32 v44, v44, v107
	ds_bpermute_b32 v107, v1, v172
	ds_bpermute_b32 v110, v1, v57
	;; [unrolled: 1-line block ×3, first 2 shown]
	s_wait_dscnt 0x8
	v_dual_add_f32 v98, v98, v106 :: v_dual_add_f32 v31, v31, v105
	v_dual_cndmask_b32 v54, -v54, v54, s0 :: v_dual_cndmask_b32 v19, -v19, v19, s0
	v_dual_cndmask_b32 v102, -v185, v185, s0 :: v_dual_cndmask_b32 v105, -v114, v114, s0
	s_wait_dscnt 0x7
	v_add_f32_e32 v99, v100, v99
	ds_bpermute_b32 v106, v1, v24
	ds_bpermute_b32 v112, v1, v26
	s_wait_dscnt 0x7
	v_dual_add_f32 v19, v19, v103 :: v_dual_add_f32 v100, v102, v104
	s_wait_dscnt 0x5
	v_dual_add_f32 v54, v54, v108 :: v_dual_add_f32 v102, v105, v109
	ds_bpermute_b32 v105, v1, v201
	ds_bpermute_b32 v108, v1, v58
	;; [unrolled: 1-line block ×5, first 2 shown]
	v_dual_cndmask_b32 v24, -v24, v24, s0 :: v_dual_cndmask_b32 v57, -v57, v57, s0
	v_dual_cndmask_b32 v103, -v172, v172, s0 :: v_dual_cndmask_b32 v104, -v115, v115, s0
	v_cndmask_b32_e64 v26, -v26, v26, s0
	ds_bpermute_b32 v115, v1, v32
	s_wait_dscnt 0x9
	v_dual_add_f32 v57, v57, v110 :: v_dual_add_f32 v103, v103, v107
	s_wait_dscnt 0x8
	v_add_f32_e32 v104, v104, v111
	v_dual_cndmask_b32 v107, -v116, v116, s0 :: v_dual_cndmask_b32 v27, -v27, v27, s0
	ds_bpermute_b32 v111, v1, v62
	ds_bpermute_b32 v116, v1, v196
	s_wait_dscnt 0x8
	v_dual_add_f32 v24, v24, v106 :: v_dual_add_f32 v26, v26, v112
	v_dual_cndmask_b32 v106, -v201, v201, s0 :: v_dual_cndmask_b32 v58, -v58, v58, s0
	v_cndmask_b32_e64 v110, -v187, v187, s0
	ds_bpermute_b32 v112, v1, v117
	ds_bpermute_b32 v119, v1, v73
	s_wait_dscnt 0x9
	v_add_f32_e32 v105, v106, v105
	s_wait_dscnt 0x7
	v_dual_add_f32 v58, v58, v108 :: v_dual_add_f32 v106, v107, v109
	s_wait_dscnt 0x5
	v_dual_add_f32 v27, v27, v113 :: v_dual_add_f32 v107, v110, v114
	v_dual_cndmask_b32 v62, -v62, v62, s0 :: v_dual_cndmask_b32 v108, -v117, v117, s0
	ds_bpermute_b32 v110, v1, v125
	ds_bpermute_b32 v113, v1, v40
	;; [unrolled: 1-line block ×5, first 2 shown]
	v_dual_cndmask_b32 v32, -v32, v32, s0 :: v_dual_cndmask_b32 v73, -v73, v73, s0
	s_wait_dscnt 0x8
	v_dual_cndmask_b32 v109, -v196, v196, s0 :: v_dual_add_f32 v62, v62, v111
	v_dual_cndmask_b32 v111, -v125, v125, s0 :: v_dual_cndmask_b32 v40, -v40, v40, s0
	s_wait_dscnt 0x7
	s_delay_alu instid0(VALU_DEP_2)
	v_dual_add_f32 v32, v32, v115 :: v_dual_add_f32 v109, v109, v116
	v_cndmask_b32_e64 v115, -v118, v118, s0
	ds_bpermute_b32 v116, v1, v33
	ds_bpermute_b32 v118, v1, v198
	;; [unrolled: 1-line block ×4, first 2 shown]
	s_wait_dscnt 0x9
	v_dual_add_f32 v108, v108, v112 :: v_dual_add_f32 v73, v73, v119
	v_dual_cndmask_b32 v112, -v197, v197, s0 :: v_dual_cndmask_b32 v63, -v63, v63, s0
	ds_bpermute_b32 v119, v1, v87
	s_wait_dscnt 0x9
	v_dual_add_f32 v110, v111, v110 :: v_dual_cndmask_b32 v33, -v33, v33, s0
	s_wait_dscnt 0x8
	v_add_f32_e32 v40, v40, v113
	s_wait_dscnt 0x6
	v_dual_add_f32 v111, v112, v114 :: v_dual_add_f32 v63, v63, v117
	s_wait_dscnt 0x5
	v_dual_add_f32 v112, v115, v130 :: v_dual_cndmask_b32 v114, -v120, v120, s0
	ds_bpermute_b32 v115, v1, v199
	ds_bpermute_b32 v117, v1, v68
	;; [unrolled: 1-line block ×5, first 2 shown]
	v_dual_cndmask_b32 v113, -v198, v198, s0 :: v_dual_cndmask_b32 v87, -v87, v87, s0
	v_cndmask_b32_e64 v36, -v36, v36, s0
	s_wait_dscnt 0x9
	v_dual_add_f32 v33, v33, v116 :: v_dual_cndmask_b32 v116, -v199, v199, s0
	s_wait_dscnt 0x8
	v_dual_cndmask_b32 v68, -v68, v68, s0 :: v_dual_add_f32 v113, v113, v118
	s_wait_dscnt 0x6
	v_dual_add_f32 v114, v114, v125 :: v_dual_add_f32 v36, v36, v132
	v_cndmask_b32_e64 v118, -v121, v121, s0
	ds_bpermute_b32 v121, v1, v82
	ds_bpermute_b32 v125, v1, v122
	;; [unrolled: 1-line block ×4, first 2 shown]
	s_wait_dscnt 0x9
	v_dual_add_f32 v87, v87, v119 :: v_dual_cndmask_b32 v41, -v41, v41, s0
	v_dual_cndmask_b32 v119, -v217, v217, s0 :: v_dual_cndmask_b32 v82, -v82, v82, s0
	ds_bpermute_b32 v135, v1, v83
	s_wait_dscnt 0x7
	v_dual_add_f32 v115, v116, v115 :: v_dual_add_f32 v116, v118, v120
	s_wait_dscnt 0x6
	v_dual_add_f32 v68, v68, v117 :: v_dual_add_f32 v41, v41, v130
	s_wait_dscnt 0x5
	v_dual_add_f32 v117, v119, v133 :: v_dual_cndmask_b32 v118, -v122, v122, s0
	ds_bpermute_b32 v120, v1, v123
	ds_bpermute_b32 v122, v1, v43
	;; [unrolled: 1-line block ×5, first 2 shown]
	v_dual_cndmask_b32 v42, -v42, v42, s0 :: v_dual_cndmask_b32 v119, -v207, v207, s0
	s_wait_dscnt 0x9
	v_dual_cndmask_b32 v83, -v83, v83, s0 :: v_dual_add_f32 v82, v82, v121
	s_wait_dscnt 0x8
	v_add_f32_e32 v118, v118, v125
	s_wait_dscnt 0x6
	v_dual_add_f32 v42, v42, v132 :: v_dual_add_f32 v119, v119, v134
	v_cndmask_b32_e64 v125, -v131, v131, s0
	ds_bpermute_b32 v131, v1, v45
	ds_bpermute_b32 v132, v1, v211
	;; [unrolled: 1-line block ×3, first 2 shown]
	s_wait_dscnt 0x8
	v_add_f32_e32 v83, v83, v135
	v_dual_cndmask_b32 v121, -v123, v123, s0 :: v_dual_cndmask_b32 v84, -v84, v84, s0
	v_cndmask_b32_e64 v43, -v43, v43, s0
	v_cndmask_b32_e64 v123, -v219, v219, s0
	ds_bpermute_b32 v135, v1, v124
	ds_bpermute_b32 v137, v1, v46
	s_wait_dscnt 0x6
	v_dual_add_f32 v120, v121, v120 :: v_dual_add_f32 v84, v84, v133
	v_dual_add_f32 v121, v123, v130 :: v_dual_cndmask_b32 v85, -v85, v85, s0
	v_dual_cndmask_b32 v45, -v45, v45, s0 :: v_dual_add_f32 v43, v43, v122
	s_wait_dscnt 0x5
	v_add_f32_e32 v123, v125, v136
	ds_bpermute_b32 v125, v1, v221
	ds_bpermute_b32 v130, v1, v101
	;; [unrolled: 1-line block ×4, first 2 shown]
	v_dual_cndmask_b32 v122, -v211, v211, s0 :: v_dual_cndmask_b32 v124, -v124, v124, s0
	ds_bpermute_b32 v136, v1, v47
	s_wait_dscnt 0x9
	v_dual_cndmask_b32 v46, -v46, v46, s0 :: v_dual_add_f32 v45, v45, v131
	s_wait_dscnt 0x7
	v_dual_add_f32 v131, v122, v132 :: v_dual_add_f32 v85, v85, v134
	ds_bpermute_b32 v132, v1, v86
	ds_bpermute_b32 v134, v1, v127
	s_wait_dscnt 0x7
	v_dual_add_f32 v124, v124, v135 :: v_dual_add_f32 v46, v46, v137
	v_dual_cndmask_b32 v122, -v221, v221, s0 :: v_dual_cndmask_b32 v126, -v126, v126, s0
	v_dual_cndmask_b32 v101, -v101, v101, s0 :: v_dual_cndmask_b32 v47, -v47, v47, s0
	ds_bpermute_b32 v135, v1, v48
	ds_bpermute_b32 v137, v1, v11
	s_wait_dscnt 0x8
	v_dual_cndmask_b32 v139, -v208, v208, s0 :: v_dual_add_f32 v125, v122, v125
	s_wait_dscnt 0x6
	v_dual_add_f32 v101, v101, v130 :: v_dual_add_f32 v126, v126, v133
	v_cndmask_b32_e64 v122, -v127, v127, s0
	s_wait_dscnt 0x5
	v_dual_add_f32 v130, v139, v138 :: v_dual_cndmask_b32 v48, -v48, v48, s0
	ds_bpermute_b32 v127, v1, v96
	ds_bpermute_b32 v133, v1, v128
	s_wait_dscnt 0x6
	v_dual_add_f32 v47, v47, v136 :: v_dual_bitop2_b32 v138, 2, v2 bitop3:0x14
	v_cndmask_b32_e64 v86, -v86, v86, s0
	ds_bpermute_b32 v136, v1, v53
	v_cndmask_b32_e64 v11, -v11, v11, s0
	v_cmp_gt_i32_e64 s1, 32, v138
	v_dual_cndmask_b32 v96, -v96, v96, s0 :: v_dual_cndmask_b32 v53, -v53, v53, s0
	s_wait_dscnt 0x6
	v_add_f32_e32 v86, v86, v132
	s_wait_dscnt 0x4
	v_dual_add_f32 v132, v122, v134 :: v_dual_add_f32 v48, v48, v135
	s_wait_dscnt 0x3
	v_dual_cndmask_b32 v122, v2, v138, s1 :: v_dual_add_f32 v11, v11, v137
	v_cndmask_b32_e64 v128, -v128, v128, s0
	ds_bpermute_b32 v134, v1, v4
	ds_bpermute_b32 v135, v1, v97
	v_lshlrev_b32_e32 v122, 2, v122
	ds_bpermute_b32 v137, v1, v129
	ds_bpermute_b32 v138, v1, v50
	s_wait_dscnt 0x6
	v_add_f32_e32 v96, v96, v127
	s_wait_dscnt 0x5
	v_dual_add_f32 v127, v128, v133 :: v_dual_bitop2_b32 v128, 2, v0 bitop3:0x40
	ds_bpermute_b32 v139, v122, v51
	s_wait_dscnt 0x5
	v_add_f32_e32 v53, v53, v136
	v_dual_cndmask_b32 v4, -v4, v4, s0 :: v_dual_cndmask_b32 v97, -v97, v97, s0
	v_cmp_eq_u32_e64 s1, 0, v128
	ds_bpermute_b32 v128, v122, v12
	ds_bpermute_b32 v133, v122, v52
	;; [unrolled: 1-line block ×5, first 2 shown]
	v_dual_cndmask_b32 v129, -v129, v129, s0 :: v_dual_cndmask_b32 v50, -v50, v50, s0
	s_wait_dscnt 0x9
	v_dual_cndmask_b32 v51, -v51, v51, s1 :: v_dual_add_f32 v4, v4, v134
	s_wait_dscnt 0x8
	v_add_f32_e32 v97, v97, v135
	ds_bpermute_b32 v134, v122, v56
	ds_bpermute_b32 v135, v122, v3
	s_wait_dscnt 0x8
	v_dual_add_f32 v129, v129, v137 :: v_dual_add_f32 v50, v50, v138
	v_dual_cndmask_b32 v12, -v12, v12, s1 :: v_dual_cndmask_b32 v55, -v55, v55, s1
	s_wait_dscnt 0x7
	v_add_f32_e32 v51, v51, v139
	ds_bpermute_b32 v137, v122, v59
	ds_bpermute_b32 v138, v122, v13
	ds_bpermute_b32 v139, v122, v60
	v_dual_cndmask_b32 v52, -v52, v52, s1 :: v_dual_cndmask_b32 v9, -v9, v9, s1
	v_cndmask_b32_e64 v8, -v8, v8, s1
	s_wait_dscnt 0x9
	v_dual_add_f32 v12, v12, v128 :: v_dual_cndmask_b32 v3, -v3, v3, s1
	ds_bpermute_b32 v128, v122, v10
	s_wait_dscnt 0x7
	v_dual_add_f32 v52, v52, v133 :: v_dual_add_f32 v55, v55, v140
	s_wait_dscnt 0x6
	v_dual_add_f32 v9, v9, v141 :: v_dual_add_f32 v8, v8, v136
	v_dual_cndmask_b32 v59, -v59, v59, s1 :: v_dual_cndmask_b32 v56, -v56, v56, s1
	v_cndmask_b32_e64 v13, -v13, v13, s1
	ds_bpermute_b32 v133, v122, v64
	ds_bpermute_b32 v136, v122, v14
	;; [unrolled: 1-line block ×4, first 2 shown]
	s_wait_dscnt 0x8
	v_dual_cndmask_b32 v60, -v60, v60, s1 :: v_dual_add_f32 v3, v3, v135
	s_wait_dscnt 0x7
	v_dual_add_f32 v56, v56, v134 :: v_dual_add_f32 v59, v59, v137
	ds_bpermute_b32 v134, v122, v66
	ds_bpermute_b32 v135, v122, v25
	s_wait_dscnt 0x7
	v_dual_add_f32 v13, v13, v138 :: v_dual_add_f32 v60, v60, v139
	v_dual_cndmask_b32 v10, -v10, v10, s1 :: v_dual_cndmask_b32 v64, -v64, v64, s1
	ds_bpermute_b32 v137, v122, v67
	ds_bpermute_b32 v138, v122, v16
	;; [unrolled: 1-line block ×3, first 2 shown]
	v_dual_cndmask_b32 v14, -v14, v14, s1 :: v_dual_cndmask_b32 v65, -v65, v65, s1
	s_wait_dscnt 0x9
	v_dual_cndmask_b32 v5, -v5, v5, s1 :: v_dual_add_f32 v10, v10, v128
	ds_bpermute_b32 v128, v122, v15
	s_wait_dscnt 0x8
	v_dual_add_f32 v64, v64, v133 :: v_dual_add_f32 v14, v14, v136
	s_wait_dscnt 0x7
	v_dual_add_f32 v65, v65, v140 :: v_dual_cndmask_b32 v66, -v66, v66, s1
	s_wait_dscnt 0x6
	v_dual_add_f32 v5, v5, v141 :: v_dual_cndmask_b32 v67, -v67, v67, s1
	v_dual_cndmask_b32 v25, -v25, v25, s1 :: v_dual_cndmask_b32 v16, -v16, v16, s1
	ds_bpermute_b32 v133, v122, v70
	ds_bpermute_b32 v136, v122, v6
	;; [unrolled: 1-line block ×4, first 2 shown]
	s_wait_dscnt 0x9
	v_dual_cndmask_b32 v69, -v69, v69, s1 :: v_dual_add_f32 v66, v66, v134
	s_wait_dscnt 0x7
	v_dual_add_f32 v25, v25, v135 :: v_dual_add_f32 v67, v67, v137
	ds_bpermute_b32 v134, v122, v72
	ds_bpermute_b32 v135, v122, v21
	s_wait_dscnt 0x7
	v_dual_add_f32 v16, v16, v138 :: v_dual_add_f32 v69, v69, v139
	v_dual_cndmask_b32 v15, -v15, v15, s1 :: v_dual_cndmask_b32 v70, -v70, v70, s1
	ds_bpermute_b32 v137, v122, v74
	ds_bpermute_b32 v138, v122, v20
	;; [unrolled: 1-line block ×3, first 2 shown]
	v_dual_cndmask_b32 v6, -v6, v6, s1 :: v_dual_cndmask_b32 v71, -v71, v71, s1
	s_wait_dscnt 0x9
	v_dual_cndmask_b32 v37, -v37, v37, s1 :: v_dual_add_f32 v15, v15, v128
	ds_bpermute_b32 v128, v122, v22
	s_wait_dscnt 0x7
	v_dual_add_f32 v70, v70, v133 :: v_dual_add_f32 v71, v71, v140
	s_wait_dscnt 0x6
	v_dual_add_f32 v6, v6, v136 :: v_dual_add_f32 v37, v37, v141
	v_dual_cndmask_b32 v72, -v72, v72, s1 :: v_dual_cndmask_b32 v21, -v21, v21, s1
	ds_bpermute_b32 v133, v122, v76
	ds_bpermute_b32 v136, v122, v30
	;; [unrolled: 1-line block ×4, first 2 shown]
	v_dual_cndmask_b32 v74, -v74, v74, s1 :: v_dual_cndmask_b32 v20, -v20, v20, s1
	s_wait_dscnt 0x9
	v_dual_cndmask_b32 v75, -v75, v75, s1 :: v_dual_add_f32 v72, v72, v134
	s_wait_dscnt 0x7
	s_delay_alu instid0(VALU_DEP_2)
	v_dual_add_f32 v21, v21, v135 :: v_dual_add_f32 v74, v74, v137
	ds_bpermute_b32 v134, v122, v78
	ds_bpermute_b32 v135, v122, v34
	s_wait_dscnt 0x7
	v_dual_add_f32 v20, v20, v138 :: v_dual_add_f32 v75, v75, v139
	v_dual_cndmask_b32 v22, -v22, v22, s1 :: v_dual_cndmask_b32 v76, -v76, v76, s1
	ds_bpermute_b32 v137, v122, v79
	ds_bpermute_b32 v138, v122, v7
	;; [unrolled: 1-line block ×3, first 2 shown]
	v_dual_cndmask_b32 v30, -v30, v30, s1 :: v_dual_cndmask_b32 v77, -v77, v77, s1
	s_wait_dscnt 0x9
	v_dual_cndmask_b32 v23, -v23, v23, s1 :: v_dual_add_f32 v22, v22, v128
	ds_bpermute_b32 v128, v122, v35
	s_wait_dscnt 0x8
	v_dual_add_f32 v76, v76, v133 :: v_dual_add_f32 v30, v30, v136
	s_wait_dscnt 0x6
	v_dual_add_f32 v77, v77, v140 :: v_dual_add_f32 v23, v23, v141
	v_dual_cndmask_b32 v78, -v78, v78, s1 :: v_dual_cndmask_b32 v79, -v79, v79, s1
	v_dual_cndmask_b32 v34, -v34, v34, s1 :: v_dual_cndmask_b32 v7, -v7, v7, s1
	ds_bpermute_b32 v133, v122, v81
	ds_bpermute_b32 v136, v122, v17
	;; [unrolled: 1-line block ×4, first 2 shown]
	s_wait_dscnt 0x9
	v_dual_cndmask_b32 v80, -v80, v80, s1 :: v_dual_add_f32 v78, v78, v134
	s_wait_dscnt 0x7
	v_dual_add_f32 v34, v34, v135 :: v_dual_add_f32 v79, v79, v137
	ds_bpermute_b32 v134, v122, v89
	ds_bpermute_b32 v135, v122, v18
	s_wait_dscnt 0x7
	v_dual_add_f32 v7, v7, v138 :: v_dual_add_f32 v80, v80, v139
	v_dual_cndmask_b32 v35, -v35, v35, s1 :: v_dual_cndmask_b32 v81, -v81, v81, s1
	ds_bpermute_b32 v137, v122, v90
	ds_bpermute_b32 v138, v122, v49
	;; [unrolled: 1-line block ×3, first 2 shown]
	v_dual_cndmask_b32 v17, -v17, v17, s1 :: v_dual_cndmask_b32 v88, -v88, v88, s1
	s_wait_dscnt 0x9
	v_dual_cndmask_b32 v38, -v38, v38, s1 :: v_dual_add_f32 v35, v35, v128
	ds_bpermute_b32 v128, v122, v28
	s_wait_dscnt 0x7
	v_dual_add_f32 v81, v81, v133 :: v_dual_add_f32 v88, v88, v140
	s_wait_dscnt 0x6
	v_dual_add_f32 v17, v17, v136 :: v_dual_add_f32 v38, v38, v141
	v_dual_cndmask_b32 v89, -v89, v89, s1 :: v_dual_cndmask_b32 v18, -v18, v18, s1
	ds_bpermute_b32 v133, v122, v92
	ds_bpermute_b32 v136, v122, v39
	;; [unrolled: 1-line block ×4, first 2 shown]
	v_dual_cndmask_b32 v90, -v90, v90, s1 :: v_dual_cndmask_b32 v49, -v49, v49, s1
	s_wait_dscnt 0x9
	v_dual_cndmask_b32 v91, -v91, v91, s1 :: v_dual_add_f32 v89, v89, v134
	s_wait_dscnt 0x8
	v_add_f32_e32 v18, v18, v135
	ds_bpermute_b32 v134, v122, v94
	ds_bpermute_b32 v135, v122, v61
	s_wait_dscnt 0x7
	v_dual_add_f32 v90, v90, v137 :: v_dual_add_f32 v91, v91, v139
	v_dual_add_f32 v49, v49, v138 :: v_dual_cndmask_b32 v28, -v28, v28, s1
	v_cndmask_b32_e64 v39, -v39, v39, s1
	ds_bpermute_b32 v137, v122, v95
	ds_bpermute_b32 v138, v122, v31
	;; [unrolled: 1-line block ×3, first 2 shown]
	v_dual_cndmask_b32 v92, -v92, v92, s1 :: v_dual_cndmask_b32 v93, -v93, v93, s1
	s_wait_dscnt 0x9
	v_dual_cndmask_b32 v29, -v29, v29, s1 :: v_dual_add_f32 v28, v28, v128
	ds_bpermute_b32 v128, v122, v44
	s_wait_dscnt 0x8
	v_dual_add_f32 v92, v92, v133 :: v_dual_add_f32 v39, v39, v136
	s_wait_dscnt 0x7
	v_dual_add_f32 v93, v93, v140 :: v_dual_cndmask_b32 v94, -v94, v94, s1
	s_wait_dscnt 0x6
	v_dual_add_f32 v29, v29, v141 :: v_dual_cndmask_b32 v95, -v95, v95, s1
	v_dual_cndmask_b32 v61, -v61, v61, s1 :: v_dual_cndmask_b32 v31, -v31, v31, s1
	ds_bpermute_b32 v133, v122, v99
	ds_bpermute_b32 v136, v122, v19
	;; [unrolled: 1-line block ×4, first 2 shown]
	s_wait_dscnt 0x8
	v_dual_cndmask_b32 v98, -v98, v98, s1 :: v_dual_add_f32 v61, v61, v135
	s_wait_dscnt 0x7
	v_dual_add_f32 v94, v94, v134 :: v_dual_add_f32 v95, v95, v137
	ds_bpermute_b32 v134, v122, v102
	ds_bpermute_b32 v135, v122, v24
	s_wait_dscnt 0x7
	v_dual_add_f32 v31, v31, v138 :: v_dual_add_f32 v98, v98, v139
	v_dual_cndmask_b32 v44, -v44, v44, s1 :: v_dual_cndmask_b32 v99, -v99, v99, s1
	ds_bpermute_b32 v137, v122, v103
	ds_bpermute_b32 v138, v122, v57
	;; [unrolled: 1-line block ×3, first 2 shown]
	v_dual_cndmask_b32 v19, -v19, v19, s1 :: v_dual_cndmask_b32 v100, -v100, v100, s1
	s_wait_dscnt 0x9
	v_dual_cndmask_b32 v54, -v54, v54, s1 :: v_dual_add_f32 v44, v44, v128
	ds_bpermute_b32 v128, v122, v26
	s_wait_dscnt 0x7
	v_dual_add_f32 v99, v99, v133 :: v_dual_add_f32 v100, v100, v140
	s_wait_dscnt 0x6
	v_dual_add_f32 v19, v19, v136 :: v_dual_add_f32 v54, v54, v141
	v_dual_cndmask_b32 v102, -v102, v102, s1 :: v_dual_cndmask_b32 v24, -v24, v24, s1
	ds_bpermute_b32 v133, v122, v105
	ds_bpermute_b32 v136, v122, v58
	;; [unrolled: 1-line block ×4, first 2 shown]
	v_dual_cndmask_b32 v103, -v103, v103, s1 :: v_dual_cndmask_b32 v57, -v57, v57, s1
	s_wait_dscnt 0x9
	v_dual_cndmask_b32 v104, -v104, v104, s1 :: v_dual_add_f32 v102, v102, v134
	s_wait_dscnt 0x7
	s_delay_alu instid0(VALU_DEP_2)
	v_dual_add_f32 v24, v24, v135 :: v_dual_add_f32 v103, v103, v137
	ds_bpermute_b32 v134, v122, v107
	ds_bpermute_b32 v135, v122, v62
	s_wait_dscnt 0x7
	v_dual_add_f32 v57, v57, v138 :: v_dual_add_f32 v104, v104, v139
	v_dual_cndmask_b32 v26, -v26, v26, s1 :: v_dual_cndmask_b32 v105, -v105, v105, s1
	ds_bpermute_b32 v137, v122, v108
	ds_bpermute_b32 v138, v122, v32
	;; [unrolled: 1-line block ×3, first 2 shown]
	v_dual_cndmask_b32 v58, -v58, v58, s1 :: v_dual_cndmask_b32 v27, -v27, v27, s1
	s_wait_dscnt 0x8
	v_dual_cndmask_b32 v106, -v106, v106, s1 :: v_dual_add_f32 v105, v105, v133
	v_add_f32_e32 v26, v26, v128
	ds_bpermute_b32 v128, v122, v73
	s_wait_dscnt 0x8
	v_dual_add_f32 v58, v58, v136 :: v_dual_cndmask_b32 v107, -v107, v107, s1
	s_wait_dscnt 0x7
	v_dual_add_f32 v106, v106, v140 :: v_dual_cndmask_b32 v109, -v109, v109, s1
	;; [unrolled: 2-line block ×3, first 2 shown]
	v_cndmask_b32_e64 v108, -v108, v108, s1
	ds_bpermute_b32 v133, v122, v110
	ds_bpermute_b32 v136, v122, v40
	ds_bpermute_b32 v140, v122, v111
	ds_bpermute_b32 v141, v122, v63
	s_wait_dscnt 0x9
	v_dual_cndmask_b32 v32, -v32, v32, s1 :: v_dual_add_f32 v107, v107, v134
	s_wait_dscnt 0x7
	v_dual_add_f32 v62, v62, v135 :: v_dual_add_f32 v108, v108, v137
	ds_bpermute_b32 v134, v122, v112
	ds_bpermute_b32 v135, v122, v33
	s_wait_dscnt 0x7
	v_dual_add_f32 v32, v32, v138 :: v_dual_add_f32 v109, v109, v139
	v_dual_cndmask_b32 v73, -v73, v73, s1 :: v_dual_cndmask_b32 v110, -v110, v110, s1
	ds_bpermute_b32 v137, v122, v113
	ds_bpermute_b32 v138, v122, v87
	;; [unrolled: 1-line block ×3, first 2 shown]
	v_dual_cndmask_b32 v40, -v40, v40, s1 :: v_dual_cndmask_b32 v111, -v111, v111, s1
	s_wait_dscnt 0x9
	v_dual_cndmask_b32 v63, -v63, v63, s1 :: v_dual_add_f32 v73, v73, v128
	ds_bpermute_b32 v128, v122, v36
	s_wait_dscnt 0x8
	v_dual_add_f32 v110, v110, v133 :: v_dual_add_f32 v40, v40, v136
	s_wait_dscnt 0x7
	v_dual_add_f32 v111, v111, v140 :: v_dual_cndmask_b32 v33, -v33, v33, s1
	s_wait_dscnt 0x6
	v_dual_add_f32 v63, v63, v141 :: v_dual_cndmask_b32 v112, -v112, v112, s1
	ds_bpermute_b32 v133, v122, v115
	ds_bpermute_b32 v136, v122, v68
	;; [unrolled: 1-line block ×3, first 2 shown]
	v_dual_cndmask_b32 v113, -v113, v113, s1 :: v_dual_cndmask_b32 v87, -v87, v87, s1
	s_wait_dscnt 0x7
	v_dual_cndmask_b32 v114, -v114, v114, s1 :: v_dual_add_f32 v33, v33, v135
	ds_bpermute_b32 v141, v122, v41
	s_wait_dscnt 0x7
	v_dual_add_f32 v112, v112, v134 :: v_dual_add_f32 v113, v113, v137
	ds_bpermute_b32 v134, v122, v117
	ds_bpermute_b32 v135, v122, v82
	s_wait_dscnt 0x7
	v_dual_add_f32 v87, v87, v138 :: v_dual_add_f32 v114, v114, v139
	v_dual_cndmask_b32 v36, -v36, v36, s1 :: v_dual_cndmask_b32 v115, -v115, v115, s1
	ds_bpermute_b32 v137, v122, v118
	ds_bpermute_b32 v138, v122, v42
	;; [unrolled: 1-line block ×3, first 2 shown]
	v_dual_cndmask_b32 v68, -v68, v68, s1 :: v_dual_cndmask_b32 v41, -v41, v41, s1
	s_wait_dscnt 0x8
	v_dual_cndmask_b32 v116, -v116, v116, s1 :: v_dual_add_f32 v115, v115, v133
	v_add_f32_e32 v36, v36, v128
	ds_bpermute_b32 v128, v122, v83
	s_wait_dscnt 0x8
	v_dual_add_f32 v68, v68, v136 :: v_dual_cndmask_b32 v117, -v117, v117, s1
	s_wait_dscnt 0x7
	v_dual_add_f32 v116, v116, v140 :: v_dual_cndmask_b32 v82, -v82, v82, s1
	ds_bpermute_b32 v133, v122, v120
	ds_bpermute_b32 v140, v122, v121
	s_wait_dscnt 0x8
	v_dual_add_f32 v41, v41, v141 :: v_dual_cndmask_b32 v118, -v118, v118, s1
	v_dual_cndmask_b32 v119, -v119, v119, s1 :: v_dual_cndmask_b32 v42, -v42, v42, s1
	ds_bpermute_b32 v136, v122, v43
	ds_bpermute_b32 v141, v122, v84
	s_wait_dscnt 0x8
	v_dual_add_f32 v117, v117, v134 :: v_dual_add_f32 v82, v82, v135
	ds_bpermute_b32 v134, v122, v123
	ds_bpermute_b32 v135, v122, v45
	s_wait_dscnt 0x9
	v_dual_add_f32 v118, v118, v137 :: v_dual_cndmask_b32 v83, -v83, v83, s1
	s_wait_dscnt 0x7
	v_dual_add_f32 v119, v119, v139 :: v_dual_add_f32 v42, v42, v138
	v_cndmask_b32_e64 v120, -v120, v120, s1
	ds_bpermute_b32 v138, v122, v85
	v_dual_cndmask_b32 v43, -v43, v43, s1 :: v_dual_cndmask_b32 v121, -v121, v121, s1
	ds_bpermute_b32 v137, v122, v131
	s_wait_dscnt 0x7
	v_dual_add_f32 v83, v83, v128 :: v_dual_add_f32 v120, v120, v133
	ds_bpermute_b32 v128, v122, v124
	v_dual_cndmask_b32 v84, -v84, v84, s1 :: v_dual_cndmask_b32 v123, -v123, v123, s1
	s_wait_dscnt 0x7
	v_dual_add_f32 v121, v121, v140 :: v_dual_cndmask_b32 v131, -v131, v131, s1
	v_cndmask_b32_e64 v45, -v45, v45, s1
	ds_bpermute_b32 v133, v122, v46
	ds_bpermute_b32 v139, v122, v101
	;; [unrolled: 1-line block ×3, first 2 shown]
	s_wait_dscnt 0x8
	v_dual_add_f32 v43, v43, v136 :: v_dual_add_f32 v84, v84, v141
	ds_bpermute_b32 v136, v122, v125
	s_wait_dscnt 0x8
	v_dual_cndmask_b32 v85, -v85, v85, s1 :: v_dual_add_f32 v134, v123, v134
	s_wait_dscnt 0x7
	v_dual_add_f32 v45, v45, v135 :: v_dual_cndmask_b32 v123, -v124, v124, s1
	ds_bpermute_b32 v124, v122, v47
	ds_bpermute_b32 v135, v122, v130
	;; [unrolled: 1-line block ×3, first 2 shown]
	s_wait_dscnt 0x7
	v_dual_add_f32 v85, v85, v138 :: v_dual_add_f32 v128, v123, v128
	ds_bpermute_b32 v138, v122, v132
	v_dual_add_f32 v131, v131, v137 :: v_dual_cndmask_b32 v46, -v46, v46, s1
	v_cndmask_b32_e64 v125, -v125, v125, s1
	ds_bpermute_b32 v137, v122, v86
	v_dual_cndmask_b32 v101, -v101, v101, s1 :: v_dual_cndmask_b32 v123, -v126, v126, s1
	ds_bpermute_b32 v126, v122, v11
	s_wait_dscnt 0x9
	v_dual_add_f32 v46, v46, v133 :: v_dual_cndmask_b32 v47, -v47, v47, s1
	s_wait_dscnt 0x8
	v_dual_cndmask_b32 v130, -v130, v130, s1 :: v_dual_add_f32 v101, v101, v139
	s_wait_dscnt 0x7
	v_add_f32_e32 v133, v123, v140
	ds_bpermute_b32 v123, v122, v96
	v_cndmask_b32_e64 v48, -v48, v48, s1
	s_wait_dscnt 0x7
	v_dual_add_f32 v125, v125, v136 :: v_dual_cndmask_b32 v86, -v86, v86, s1
	v_cndmask_b32_e64 v132, -v132, v132, s1
	s_wait_dscnt 0x5
	v_dual_add_f32 v47, v47, v124 :: v_dual_add_f32 v124, v130, v135
	s_wait_dscnt 0x4
	v_dual_add_f32 v48, v48, v141 :: v_dual_bitop2_b32 v136, 4, v2 bitop3:0x14
	s_wait_dscnt 0x3
	v_dual_add_f32 v130, v132, v138 :: v_dual_cndmask_b32 v11, -v11, v11, s1
	s_wait_dscnt 0x2
	v_add_f32_e32 v86, v86, v137
	ds_bpermute_b32 v132, v122, v127
	v_cmp_gt_i32_e64 s17, 32, v136
	ds_bpermute_b32 v135, v122, v53
	ds_bpermute_b32 v137, v122, v4
	s_wait_dscnt 0x4
	v_dual_cndmask_b32 v96, -v96, v96, s1 :: v_dual_add_f32 v11, v11, v126
	ds_bpermute_b32 v138, v122, v97
	v_cndmask_b32_e64 v126, v2, v136, s17
	v_cndmask_b32_e64 v4, -v4, v4, s1
	s_wait_dscnt 0x4
	v_add_f32_e32 v96, v96, v123
	v_dual_cndmask_b32 v127, -v127, v127, s1 :: v_dual_cndmask_b32 v53, -v53, v53, s1
	v_lshlrev_b32_e32 v123, 2, v126
	ds_bpermute_b32 v126, v122, v129
	v_dual_cndmask_b32 v97, -v97, v97, s1 :: v_dual_bitop2_b32 v139, 4, v0 bitop3:0x40
	ds_bpermute_b32 v136, v122, v50
	ds_bpermute_b32 v140, v123, v51
	;; [unrolled: 1-line block ×4, first 2 shown]
	s_wait_dscnt 0x8
	v_add_f32_e32 v127, v127, v132
	v_cmp_eq_u32_e64 s17, 0, v139
	s_wait_dscnt 0x6
	v_dual_add_f32 v53, v53, v135 :: v_dual_add_f32 v4, v4, v137
	ds_bpermute_b32 v132, v123, v8
	ds_bpermute_b32 v135, v123, v55
	s_wait_dscnt 0x7
	v_add_f32_e32 v97, v97, v138
	ds_bpermute_b32 v138, v123, v56
	v_dual_cndmask_b32 v129, -v129, v129, s1 :: v_dual_cndmask_b32 v50, -v50, v50, s1
	v_dual_cndmask_b32 v51, -v51, v51, s17 :: v_dual_cndmask_b32 v12, -v12, v12, s17
	ds_bpermute_b32 v137, v123, v9
	ds_bpermute_b32 v139, v123, v3
	s_wait_dscnt 0x9
	v_dual_cndmask_b32 v52, -v52, v52, s17 :: v_dual_add_f32 v126, v129, v126
	ds_bpermute_b32 v129, v123, v59
	s_wait_dscnt 0x8
	v_add_f32_e32 v51, v51, v140
	ds_bpermute_b32 v140, v123, v60
	s_wait_dscnt 0x8
	v_dual_add_f32 v50, v50, v136 :: v_dual_add_f32 v12, v12, v141
	s_wait_dscnt 0x7
	v_add_f32_e32 v52, v52, v142
	v_dual_cndmask_b32 v8, -v8, v8, s17 :: v_dual_cndmask_b32 v55, -v55, v55, s17
	v_dual_cndmask_b32 v9, -v9, v9, s17 :: v_dual_cndmask_b32 v56, -v56, v56, s17
	ds_bpermute_b32 v136, v123, v13
	ds_bpermute_b32 v141, v123, v10
	;; [unrolled: 1-line block ×3, first 2 shown]
	s_wait_dscnt 0x9
	v_dual_cndmask_b32 v3, -v3, v3, s17 :: v_dual_add_f32 v8, v8, v132
	s_wait_dscnt 0x6
	v_dual_add_f32 v55, v55, v135 :: v_dual_add_f32 v9, v9, v137
	s_wait_dscnt 0x5
	s_delay_alu instid0(VALU_DEP_2)
	v_dual_add_f32 v56, v56, v138 :: v_dual_add_f32 v3, v3, v139
	ds_bpermute_b32 v132, v123, v14
	ds_bpermute_b32 v135, v123, v65
	;; [unrolled: 1-line block ×3, first 2 shown]
	v_dual_cndmask_b32 v59, -v59, v59, s17 :: v_dual_cndmask_b32 v13, -v13, v13, s17
	v_dual_cndmask_b32 v60, -v60, v60, s17 :: v_dual_cndmask_b32 v10, -v10, v10, s17
	ds_bpermute_b32 v137, v123, v5
	ds_bpermute_b32 v139, v123, v25
	s_wait_dscnt 0x9
	v_dual_cndmask_b32 v64, -v64, v64, s17 :: v_dual_add_f32 v59, v59, v129
	s_wait_dscnt 0x8
	v_dual_add_f32 v60, v60, v140 :: v_dual_cndmask_b32 v14, -v14, v14, s17
	ds_bpermute_b32 v129, v123, v67
	ds_bpermute_b32 v140, v123, v69
	s_wait_dscnt 0x8
	v_dual_add_f32 v13, v13, v136 :: v_dual_add_f32 v10, v10, v141
	s_wait_dscnt 0x7
	v_dual_add_f32 v64, v64, v142 :: v_dual_cndmask_b32 v65, -v65, v65, s17
	v_dual_cndmask_b32 v5, -v5, v5, s17 :: v_dual_cndmask_b32 v66, -v66, v66, s17
	ds_bpermute_b32 v136, v123, v16
	ds_bpermute_b32 v141, v123, v15
	s_wait_dscnt 0x8
	v_dual_cndmask_b32 v25, -v25, v25, s17 :: v_dual_add_f32 v14, v14, v132
	ds_bpermute_b32 v142, v123, v70
	s_wait_dscnt 0x7
	v_dual_add_f32 v65, v65, v135 :: v_dual_add_f32 v66, v66, v138
	ds_bpermute_b32 v132, v123, v6
	ds_bpermute_b32 v135, v123, v71
	;; [unrolled: 1-line block ×3, first 2 shown]
	s_wait_dscnt 0x9
	v_dual_add_f32 v5, v5, v137 :: v_dual_cndmask_b32 v67, -v67, v67, s17
	s_wait_dscnt 0x8
	v_dual_add_f32 v25, v25, v139 :: v_dual_cndmask_b32 v16, -v16, v16, s17
	v_dual_cndmask_b32 v69, -v69, v69, s17 :: v_dual_cndmask_b32 v15, -v15, v15, s17
	ds_bpermute_b32 v137, v123, v37
	ds_bpermute_b32 v139, v123, v21
	s_wait_dscnt 0x9
	v_dual_cndmask_b32 v70, -v70, v70, s17 :: v_dual_add_f32 v67, v67, v129
	s_wait_dscnt 0x8
	v_add_f32_e32 v69, v69, v140
	ds_bpermute_b32 v129, v123, v74
	ds_bpermute_b32 v140, v123, v75
	s_wait_dscnt 0x8
	v_dual_add_f32 v16, v16, v136 :: v_dual_add_f32 v15, v15, v141
	v_dual_cndmask_b32 v6, -v6, v6, s17 :: v_dual_cndmask_b32 v71, -v71, v71, s17
	v_dual_cndmask_b32 v37, -v37, v37, s17 :: v_dual_cndmask_b32 v72, -v72, v72, s17
	ds_bpermute_b32 v136, v123, v20
	ds_bpermute_b32 v141, v123, v22
	s_wait_dscnt 0x9
	v_dual_add_f32 v70, v70, v142 :: v_dual_cndmask_b32 v21, -v21, v21, s17
	s_wait_dscnt 0x8
	v_add_f32_e32 v6, v6, v132
	ds_bpermute_b32 v142, v123, v76
	s_wait_dscnt 0x6
	v_dual_add_f32 v71, v71, v135 :: v_dual_add_f32 v37, v37, v137
	s_wait_dscnt 0x5
	v_dual_add_f32 v72, v72, v138 :: v_dual_add_f32 v21, v21, v139
	ds_bpermute_b32 v132, v123, v30
	ds_bpermute_b32 v135, v123, v77
	;; [unrolled: 1-line block ×3, first 2 shown]
	v_dual_cndmask_b32 v74, -v74, v74, s17 :: v_dual_cndmask_b32 v20, -v20, v20, s17
	v_dual_cndmask_b32 v75, -v75, v75, s17 :: v_dual_cndmask_b32 v22, -v22, v22, s17
	ds_bpermute_b32 v137, v123, v23
	ds_bpermute_b32 v139, v123, v34
	s_wait_dscnt 0x9
	v_dual_cndmask_b32 v76, -v76, v76, s17 :: v_dual_add_f32 v74, v74, v129
	s_wait_dscnt 0x8
	v_add_f32_e32 v75, v75, v140
	ds_bpermute_b32 v129, v123, v79
	ds_bpermute_b32 v140, v123, v80
	s_wait_dscnt 0x8
	v_dual_add_f32 v20, v20, v136 :: v_dual_add_f32 v22, v22, v141
	v_dual_cndmask_b32 v30, -v30, v30, s17 :: v_dual_cndmask_b32 v77, -v77, v77, s17
	v_dual_cndmask_b32 v23, -v23, v23, s17 :: v_dual_cndmask_b32 v78, -v78, v78, s17
	ds_bpermute_b32 v136, v123, v7
	ds_bpermute_b32 v141, v123, v35
	s_wait_dscnt 0x9
	v_add_f32_e32 v76, v76, v142
	s_wait_dscnt 0x7
	v_dual_cndmask_b32 v34, -v34, v34, s17 :: v_dual_add_f32 v77, v77, v135
	ds_bpermute_b32 v142, v123, v81
	s_wait_dscnt 0x6
	v_dual_add_f32 v30, v30, v132 :: v_dual_add_f32 v23, v23, v137
	v_dual_add_f32 v78, v78, v138 :: v_dual_cndmask_b32 v79, -v79, v79, s17
	ds_bpermute_b32 v132, v123, v17
	ds_bpermute_b32 v135, v123, v88
	;; [unrolled: 1-line block ×3, first 2 shown]
	s_wait_dscnt 0x8
	v_dual_add_f32 v34, v34, v139 :: v_dual_cndmask_b32 v80, -v80, v80, s17
	ds_bpermute_b32 v137, v123, v38
	ds_bpermute_b32 v139, v123, v18
	v_dual_cndmask_b32 v7, -v7, v7, s17 :: v_dual_cndmask_b32 v81, -v81, v81, s17
	s_wait_dscnt 0x8
	v_dual_cndmask_b32 v35, -v35, v35, s17 :: v_dual_add_f32 v80, v80, v140
	v_add_f32_e32 v79, v79, v129
	ds_bpermute_b32 v129, v123, v90
	ds_bpermute_b32 v140, v123, v91
	s_wait_dscnt 0x9
	v_dual_add_f32 v7, v7, v136 :: v_dual_cndmask_b32 v17, -v17, v17, s17
	s_wait_dscnt 0x8
	v_dual_add_f32 v35, v35, v141 :: v_dual_cndmask_b32 v88, -v88, v88, s17
	v_dual_cndmask_b32 v38, -v38, v38, s17 :: v_dual_cndmask_b32 v89, -v89, v89, s17
	s_wait_dscnt 0x7
	v_add_f32_e32 v81, v81, v142
	s_wait_dscnt 0x6
	v_dual_cndmask_b32 v18, -v18, v18, s17 :: v_dual_add_f32 v17, v17, v132
	ds_bpermute_b32 v136, v123, v49
	ds_bpermute_b32 v142, v123, v92
	s_wait_dscnt 0x5
	v_dual_add_f32 v88, v88, v135 :: v_dual_add_f32 v38, v38, v137
	s_wait_dscnt 0x4
	v_dual_add_f32 v89, v89, v138 :: v_dual_add_f32 v18, v18, v139
	ds_bpermute_b32 v132, v123, v39
	ds_bpermute_b32 v135, v123, v93
	;; [unrolled: 1-line block ×3, first 2 shown]
	v_dual_cndmask_b32 v90, -v90, v90, s17 :: v_dual_cndmask_b32 v49, -v49, v49, s17
	v_cndmask_b32_e64 v91, -v91, v91, s17
	ds_bpermute_b32 v137, v123, v29
	ds_bpermute_b32 v139, v123, v61
	;; [unrolled: 1-line block ×3, first 2 shown]
	v_cndmask_b32_e64 v28, -v28, v28, s17
	s_wait_dscnt 0x9
	v_dual_cndmask_b32 v92, -v92, v92, s17 :: v_dual_add_f32 v90, v90, v129
	s_wait_dscnt 0x8
	v_add_f32_e32 v91, v91, v140
	ds_bpermute_b32 v129, v123, v95
	ds_bpermute_b32 v140, v123, v98
	v_dual_cndmask_b32 v39, -v39, v39, s17 :: v_dual_cndmask_b32 v93, -v93, v93, s17
	v_dual_cndmask_b32 v29, -v29, v29, s17 :: v_dual_cndmask_b32 v94, -v94, v94, s17
	s_wait_dscnt 0x8
	v_dual_add_f32 v49, v49, v136 :: v_dual_add_f32 v92, v92, v142
	s_wait_dscnt 0x7
	v_dual_cndmask_b32 v61, -v61, v61, s17 :: v_dual_add_f32 v39, v39, v132
	ds_bpermute_b32 v136, v123, v31
	ds_bpermute_b32 v142, v123, v99
	s_wait_dscnt 0x7
	v_dual_add_f32 v93, v93, v135 :: v_dual_add_f32 v94, v94, v138
	ds_bpermute_b32 v132, v123, v19
	ds_bpermute_b32 v135, v123, v100
	;; [unrolled: 1-line block ×3, first 2 shown]
	s_wait_dscnt 0x9
	v_dual_add_f32 v29, v29, v137 :: v_dual_cndmask_b32 v95, -v95, v95, s17
	s_wait_dscnt 0x8
	v_dual_add_f32 v61, v61, v139 :: v_dual_cndmask_b32 v98, -v98, v98, s17
	ds_bpermute_b32 v137, v123, v54
	ds_bpermute_b32 v139, v123, v24
	s_wait_dscnt 0x9
	v_add_f32_e32 v28, v28, v141
	ds_bpermute_b32 v141, v123, v44
	s_wait_dscnt 0x8
	v_dual_cndmask_b32 v99, -v99, v99, s17 :: v_dual_add_f32 v98, v98, v140
	v_dual_add_f32 v95, v95, v129 :: v_dual_cndmask_b32 v100, -v100, v100, s17
	ds_bpermute_b32 v129, v123, v103
	ds_bpermute_b32 v140, v123, v104
	v_dual_cndmask_b32 v31, -v31, v31, s17 :: v_dual_cndmask_b32 v44, -v44, v44, s17
	v_dual_cndmask_b32 v19, -v19, v19, s17 :: v_dual_cndmask_b32 v54, -v54, v54, s17
	s_wait_dscnt 0x9
	s_delay_alu instid0(VALU_DEP_2)
	v_dual_cndmask_b32 v102, -v102, v102, s17 :: v_dual_add_f32 v31, v31, v136
	s_wait_dscnt 0x8
	v_dual_add_f32 v99, v99, v142 :: v_dual_cndmask_b32 v24, -v24, v24, s17
	ds_bpermute_b32 v136, v123, v57
	s_wait_dscnt 0x7
	v_dual_add_f32 v19, v19, v132 :: v_dual_add_f32 v100, v100, v135
	s_wait_dscnt 0x5
	v_add_f32_e32 v54, v54, v137
	s_wait_dscnt 0x4
	v_dual_add_f32 v102, v102, v138 :: v_dual_add_f32 v24, v24, v139
	ds_bpermute_b32 v132, v123, v58
	ds_bpermute_b32 v135, v123, v106
	ds_bpermute_b32 v138, v123, v107
	v_dual_cndmask_b32 v103, -v103, v103, s17 :: v_dual_cndmask_b32 v57, -v57, v57, s17
	v_cndmask_b32_e64 v104, -v104, v104, s17
	ds_bpermute_b32 v137, v123, v27
	ds_bpermute_b32 v139, v123, v62
	s_wait_dscnt 0x8
	v_add_f32_e32 v44, v44, v141
	ds_bpermute_b32 v141, v123, v26
	ds_bpermute_b32 v142, v123, v105
	v_dual_cndmask_b32 v26, -v26, v26, s17 :: v_dual_cndmask_b32 v105, -v105, v105, s17
	s_wait_dscnt 0x8
	v_dual_add_f32 v104, v104, v140 :: v_dual_add_f32 v103, v103, v129
	s_wait_dscnt 0x7
	v_add_f32_e32 v57, v57, v136
	ds_bpermute_b32 v129, v123, v108
	ds_bpermute_b32 v140, v123, v109
	v_dual_cndmask_b32 v58, -v58, v58, s17 :: v_dual_cndmask_b32 v27, -v27, v27, s17
	v_dual_cndmask_b32 v106, -v106, v106, s17 :: v_dual_cndmask_b32 v107, -v107, v107, s17
	v_cndmask_b32_e64 v62, -v62, v62, s17
	ds_bpermute_b32 v136, v123, v32
	s_wait_dscnt 0x9
	v_add_f32_e32 v58, v58, v132
	s_wait_dscnt 0x8
	v_dual_add_f32 v106, v106, v135 :: v_dual_cndmask_b32 v108, -v108, v108, s17
	s_wait_dscnt 0x7
	v_add_f32_e32 v107, v107, v138
	ds_bpermute_b32 v132, v123, v40
	ds_bpermute_b32 v135, v123, v111
	;; [unrolled: 1-line block ×3, first 2 shown]
	s_wait_dscnt 0x8
	v_dual_add_f32 v27, v27, v137 :: v_dual_add_f32 v62, v62, v139
	v_dual_cndmask_b32 v32, -v32, v32, s17 :: v_dual_cndmask_b32 v109, -v109, v109, s17
	ds_bpermute_b32 v137, v123, v63
	ds_bpermute_b32 v139, v123, v33
	s_wait_dscnt 0x8
	v_dual_add_f32 v26, v26, v141 :: v_dual_add_f32 v105, v105, v142
	ds_bpermute_b32 v141, v123, v73
	ds_bpermute_b32 v142, v123, v110
	s_wait_dscnt 0x9
	v_dual_cndmask_b32 v110, -v110, v110, s17 :: v_dual_add_f32 v108, v108, v129
	s_wait_dscnt 0x8
	v_add_f32_e32 v109, v109, v140
	ds_bpermute_b32 v129, v123, v113
	ds_bpermute_b32 v140, v123, v114
	v_dual_cndmask_b32 v40, -v40, v40, s17 :: v_dual_cndmask_b32 v111, -v111, v111, s17
	v_dual_cndmask_b32 v63, -v63, v63, s17 :: v_dual_cndmask_b32 v112, -v112, v112, s17
	s_wait_dscnt 0x9
	v_dual_cndmask_b32 v73, -v73, v73, s17 :: v_dual_add_f32 v32, v32, v136
	s_wait_dscnt 0x8
	v_dual_cndmask_b32 v33, -v33, v33, s17 :: v_dual_add_f32 v40, v40, v132
	ds_bpermute_b32 v136, v123, v87
	s_wait_dscnt 0x7
	v_dual_add_f32 v111, v111, v135 :: v_dual_add_f32 v112, v112, v138
	ds_bpermute_b32 v132, v123, v68
	ds_bpermute_b32 v138, v123, v117
	s_wait_dscnt 0x7
	v_dual_add_f32 v63, v63, v137 :: v_dual_add_f32 v33, v33, v139
	v_dual_cndmask_b32 v113, -v113, v113, s17 :: v_dual_cndmask_b32 v87, -v87, v87, s17
	v_cndmask_b32_e64 v114, -v114, v114, s17
	ds_bpermute_b32 v135, v123, v116
	ds_bpermute_b32 v137, v123, v41
	;; [unrolled: 1-line block ×3, first 2 shown]
	s_wait_dscnt 0x8
	v_dual_add_f32 v73, v73, v141 :: v_dual_add_f32 v110, v110, v142
	ds_bpermute_b32 v141, v123, v36
	ds_bpermute_b32 v142, v123, v115
	v_dual_cndmask_b32 v36, -v36, v36, s17 :: v_dual_cndmask_b32 v115, -v115, v115, s17
	s_wait_dscnt 0x8
	v_dual_add_f32 v113, v113, v129 :: v_dual_add_f32 v114, v114, v140
	ds_bpermute_b32 v129, v123, v118
	ds_bpermute_b32 v140, v123, v119
	v_dual_cndmask_b32 v68, -v68, v68, s17 :: v_dual_cndmask_b32 v41, -v41, v41, s17
	v_dual_cndmask_b32 v116, -v116, v116, s17 :: v_dual_cndmask_b32 v117, -v117, v117, s17
	s_wait_dscnt 0x9
	v_dual_add_f32 v87, v87, v136 :: v_dual_cndmask_b32 v82, -v82, v82, s17
	s_wait_dscnt 0x8
	v_add_f32_e32 v68, v68, v132
	ds_bpermute_b32 v136, v123, v42
	s_wait_dscnt 0x8
	v_add_f32_e32 v117, v117, v138
	ds_bpermute_b32 v132, v123, v43
	ds_bpermute_b32 v138, v123, v134
	s_wait_dscnt 0x8
	v_dual_add_f32 v116, v116, v135 :: v_dual_add_f32 v41, v41, v137
	s_wait_dscnt 0x7
	v_add_f32_e32 v82, v82, v139
	v_dual_cndmask_b32 v118, -v118, v118, s17 :: v_dual_cndmask_b32 v119, -v119, v119, s17
	ds_bpermute_b32 v135, v123, v121
	ds_bpermute_b32 v137, v123, v84
	;; [unrolled: 1-line block ×3, first 2 shown]
	s_wait_dscnt 0x8
	v_add_f32_e32 v115, v115, v142
	ds_bpermute_b32 v142, v123, v120
	s_wait_dscnt 0x8
	v_dual_cndmask_b32 v120, -v120, v120, s17 :: v_dual_add_f32 v118, v118, v129
	s_wait_dscnt 0x7
	v_add_f32_e32 v119, v119, v140
	v_dual_cndmask_b32 v84, -v84, v84, s17 :: v_dual_cndmask_b32 v129, -v134, v134, s17
	ds_bpermute_b32 v134, v123, v131
	ds_bpermute_b32 v140, v123, v128
	v_dual_cndmask_b32 v42, -v42, v42, s17 :: v_dual_cndmask_b32 v43, -v43, v43, s17
	v_cndmask_b32_e64 v121, -v121, v121, s17
	v_add_f32_e32 v36, v36, v141
	ds_bpermute_b32 v141, v123, v83
	s_wait_dscnt 0x9
	v_dual_cndmask_b32 v83, -v83, v83, s17 :: v_dual_add_f32 v42, v42, v136
	s_wait_dscnt 0x8
	v_dual_cndmask_b32 v45, -v45, v45, s17 :: v_dual_add_f32 v43, v43, v132
	ds_bpermute_b32 v136, v123, v85
	s_wait_dscnt 0x8
	v_dual_add_f32 v129, v129, v138 :: v_dual_cndmask_b32 v131, -v131, v131, s17
	ds_bpermute_b32 v132, v123, v101
	ds_bpermute_b32 v138, v123, v124
	s_wait_dscnt 0x8
	v_dual_add_f32 v121, v121, v135 :: v_dual_add_f32 v84, v84, v137
	s_wait_dscnt 0x7
	v_dual_add_f32 v45, v45, v139 :: v_dual_cndmask_b32 v128, -v128, v128, s17
	ds_bpermute_b32 v135, v123, v133
	ds_bpermute_b32 v137, v123, v47
	;; [unrolled: 1-line block ×3, first 2 shown]
	s_wait_dscnt 0x9
	v_add_f32_e32 v120, v120, v142
	ds_bpermute_b32 v142, v123, v125
	s_wait_dscnt 0x9
	v_dual_cndmask_b32 v125, -v125, v125, s17 :: v_dual_add_f32 v131, v131, v134
	s_wait_dscnt 0x8
	v_add_f32_e32 v128, v128, v140
	ds_bpermute_b32 v134, v123, v130
	ds_bpermute_b32 v140, v123, v11
	v_cndmask_b32_e64 v85, -v85, v85, s17
	v_dual_cndmask_b32 v101, -v101, v101, s17 :: v_dual_cndmask_b32 v47, -v47, v47, s17
	v_dual_cndmask_b32 v133, -v133, v133, s17 :: v_dual_cndmask_b32 v124, -v124, v124, s17
	s_wait_dscnt 0x9
	v_add_f32_e32 v83, v83, v141
	ds_bpermute_b32 v141, v123, v46
	s_wait_dscnt 0x9
	v_dual_cndmask_b32 v46, -v46, v46, s17 :: v_dual_add_f32 v85, v85, v136
	ds_bpermute_b32 v136, v123, v48
	s_wait_dscnt 0x9
	v_dual_cndmask_b32 v86, -v86, v86, s17 :: v_dual_add_f32 v101, v101, v132
	s_wait_dscnt 0x8
	v_dual_add_f32 v124, v124, v138 :: v_dual_cndmask_b32 v11, -v11, v11, s17
	s_wait_dscnt 0x7
	v_dual_add_f32 v132, v133, v135 :: v_dual_bitop2_b32 v138, 8, v2 bitop3:0x14
	s_wait_dscnt 0x5
	v_dual_add_f32 v47, v47, v137 :: v_dual_add_f32 v86, v86, v139
	v_dual_cndmask_b32 v130, -v130, v130, s17 :: v_dual_cndmask_b32 v48, -v48, v48, s17
	ds_bpermute_b32 v133, v123, v96
	ds_bpermute_b32 v135, v123, v127
	;; [unrolled: 1-line block ×4, first 2 shown]
	v_cmp_gt_i32_e64 s18, 32, v138
	s_wait_dscnt 0x6
	v_dual_add_f32 v130, v130, v134 :: v_dual_add_f32 v11, v11, v140
	s_wait_dscnt 0x5
	v_dual_add_f32 v46, v46, v141 :: v_dual_add_f32 v125, v125, v142
	s_wait_dscnt 0x4
	v_dual_cndmask_b32 v134, v2, v138, s18 :: v_dual_add_f32 v48, v48, v136
	v_dual_cndmask_b32 v96, -v96, v96, s17 :: v_dual_cndmask_b32 v127, -v127, v127, s17
	v_dual_cndmask_b32 v53, -v53, v53, s17 :: v_dual_cndmask_b32 v4, -v4, v4, s17
	s_delay_alu instid0(VALU_DEP_3)
	v_dual_lshlrev_b32 v134, 2, v134 :: v_dual_bitop2_b32 v141, 8, v0 bitop3:0x40
	ds_bpermute_b32 v136, v123, v97
	ds_bpermute_b32 v138, v123, v126
	;; [unrolled: 1-line block ×5, first 2 shown]
	s_wait_dscnt 0x7
	v_dual_add_f32 v96, v96, v133 :: v_dual_add_f32 v127, v127, v135
	s_wait_dscnt 0x5
	v_dual_add_f32 v53, v53, v137 :: v_dual_add_f32 v4, v4, v139
	v_cmp_eq_u32_e64 s18, 0, v141
	ds_bpermute_b32 v133, v134, v52
	ds_bpermute_b32 v135, v134, v8
	;; [unrolled: 1-line block ×5, first 2 shown]
	v_dual_cndmask_b32 v97, -v97, v97, s17 :: v_dual_cndmask_b32 v126, -v126, v126, s17
	v_dual_cndmask_b32 v50, -v50, v50, s17 :: v_dual_cndmask_b32 v51, -v51, v51, s18
	v_cndmask_b32_e64 v12, -v12, v12, s18
	s_wait_dscnt 0x8
	s_delay_alu instid0(VALU_DEP_3)
	v_dual_add_f32 v97, v97, v136 :: v_dual_add_f32 v126, v126, v138
	s_wait_dscnt 0x6
	v_dual_add_f32 v50, v50, v140 :: v_dual_add_f32 v51, v51, v142
	s_wait_dscnt 0x5
	v_add_f32_e32 v12, v12, v143
	v_dual_cndmask_b32 v52, -v52, v52, s18 :: v_dual_cndmask_b32 v55, -v55, v55, s18
	v_dual_cndmask_b32 v8, -v8, v8, s18 :: v_dual_cndmask_b32 v9, -v9, v9, s18
	v_cndmask_b32_e64 v56, -v56, v56, s18
	ds_bpermute_b32 v136, v134, v3
	ds_bpermute_b32 v138, v134, v59
	;; [unrolled: 1-line block ×5, first 2 shown]
	s_wait_dscnt 0x6
	v_dual_add_f32 v52, v52, v133 :: v_dual_add_f32 v9, v9, v139
	v_dual_add_f32 v8, v8, v135 :: v_dual_cndmask_b32 v13, -v13, v13, s18
	v_add_f32_e32 v55, v55, v137
	s_wait_dscnt 0x5
	v_dual_add_f32 v56, v56, v141 :: v_dual_cndmask_b32 v3, -v3, v3, s18
	ds_bpermute_b32 v133, v134, v64
	ds_bpermute_b32 v135, v134, v14
	;; [unrolled: 1-line block ×5, first 2 shown]
	v_dual_cndmask_b32 v59, -v59, v59, s18 :: v_dual_cndmask_b32 v60, -v60, v60, s18
	s_wait_dscnt 0x9
	v_dual_cndmask_b32 v10, -v10, v10, s18 :: v_dual_add_f32 v3, v3, v136
	v_dual_cndmask_b32 v64, -v64, v64, s18 :: v_dual_cndmask_b32 v14, -v14, v14, s18
	s_wait_dscnt 0x7
	v_dual_add_f32 v59, v59, v138 :: v_dual_add_f32 v13, v13, v140
	s_wait_dscnt 0x5
	v_dual_add_f32 v60, v60, v142 :: v_dual_add_f32 v10, v10, v143
	v_dual_cndmask_b32 v65, -v65, v65, s18 :: v_dual_cndmask_b32 v66, -v66, v66, s18
	v_cndmask_b32_e64 v5, -v5, v5, s18
	ds_bpermute_b32 v136, v134, v25
	ds_bpermute_b32 v138, v134, v67
	;; [unrolled: 1-line block ×5, first 2 shown]
	s_wait_dscnt 0x8
	v_dual_add_f32 v14, v14, v135 :: v_dual_add_f32 v64, v64, v133
	s_wait_dscnt 0x6
	v_add_f32_e32 v5, v5, v139
	v_dual_add_f32 v65, v65, v137 :: v_dual_cndmask_b32 v67, -v67, v67, s18
	s_wait_dscnt 0x5
	v_dual_add_f32 v66, v66, v141 :: v_dual_cndmask_b32 v16, -v16, v16, s18
	ds_bpermute_b32 v133, v134, v70
	ds_bpermute_b32 v135, v134, v6
	;; [unrolled: 1-line block ×5, first 2 shown]
	v_dual_cndmask_b32 v25, -v25, v25, s18 :: v_dual_cndmask_b32 v15, -v15, v15, s18
	v_dual_cndmask_b32 v69, -v69, v69, s18 :: v_dual_cndmask_b32 v70, -v70, v70, s18
	s_wait_dscnt 0x9
	s_delay_alu instid0(VALU_DEP_2)
	v_dual_cndmask_b32 v71, -v71, v71, s18 :: v_dual_add_f32 v25, v25, v136
	s_wait_dscnt 0x7
	v_dual_add_f32 v67, v67, v138 :: v_dual_add_f32 v16, v16, v140
	s_wait_dscnt 0x5
	v_dual_add_f32 v69, v69, v142 :: v_dual_add_f32 v15, v15, v143
	v_dual_cndmask_b32 v6, -v6, v6, s18 :: v_dual_cndmask_b32 v37, -v37, v37, s18
	v_cndmask_b32_e64 v72, -v72, v72, s18
	ds_bpermute_b32 v136, v134, v21
	ds_bpermute_b32 v138, v134, v74
	;; [unrolled: 1-line block ×5, first 2 shown]
	s_wait_dscnt 0x9
	v_add_f32_e32 v70, v70, v133
	s_wait_dscnt 0x7
	v_dual_add_f32 v6, v6, v135 :: v_dual_add_f32 v71, v71, v137
	s_wait_dscnt 0x5
	v_dual_add_f32 v133, v37, v139 :: v_dual_add_f32 v72, v72, v141
	v_dual_cndmask_b32 v21, -v21, v21, s18 :: v_dual_cndmask_b32 v37, -v74, v74, s18
	v_dual_cndmask_b32 v20, -v20, v20, s18 :: v_dual_cndmask_b32 v74, -v75, v75, s18
	ds_bpermute_b32 v75, v134, v76
	ds_bpermute_b32 v135, v134, v30
	;; [unrolled: 1-line block ×5, first 2 shown]
	s_wait_dscnt 0x9
	v_dual_cndmask_b32 v22, -v22, v22, s18 :: v_dual_add_f32 v21, v21, v136
	s_wait_dscnt 0x7
	v_dual_add_f32 v136, v37, v138 :: v_dual_add_f32 v20, v20, v140
	s_wait_dscnt 0x6
	v_dual_add_f32 v74, v74, v142 :: v_dual_cndmask_b32 v37, -v76, v76, s18
	s_wait_dscnt 0x5
	v_dual_add_f32 v22, v22, v143 :: v_dual_cndmask_b32 v76, -v77, v77, s18
	v_dual_cndmask_b32 v30, -v30, v30, s18 :: v_dual_cndmask_b32 v23, -v23, v23, s18
	v_cndmask_b32_e64 v77, -v78, v78, s18
	ds_bpermute_b32 v78, v134, v34
	ds_bpermute_b32 v138, v134, v79
	ds_bpermute_b32 v140, v134, v7
	ds_bpermute_b32 v142, v134, v80
	ds_bpermute_b32 v143, v134, v35
	s_wait_dscnt 0x9
	v_add_f32_e32 v75, v37, v75
	s_wait_dscnt 0x7
	v_dual_add_f32 v30, v30, v135 :: v_dual_add_f32 v76, v76, v137
	s_wait_dscnt 0x5
	v_dual_add_f32 v23, v23, v139 :: v_dual_add_f32 v77, v77, v141
	v_dual_cndmask_b32 v34, -v34, v34, s18 :: v_dual_cndmask_b32 v37, -v79, v79, s18
	v_dual_cndmask_b32 v7, -v7, v7, s18 :: v_dual_cndmask_b32 v79, -v80, v80, s18
	ds_bpermute_b32 v80, v134, v81
	ds_bpermute_b32 v135, v134, v17
	;; [unrolled: 1-line block ×5, first 2 shown]
	s_wait_dscnt 0x9
	v_dual_cndmask_b32 v35, -v35, v35, s18 :: v_dual_add_f32 v78, v34, v78
	s_wait_dscnt 0x7
	v_dual_add_f32 v138, v37, v138 :: v_dual_add_f32 v7, v7, v140
	s_wait_dscnt 0x6
	v_dual_add_f32 v79, v79, v142 :: v_dual_cndmask_b32 v34, -v81, v81, s18
	s_wait_dscnt 0x5
	v_dual_add_f32 v140, v35, v143 :: v_dual_cndmask_b32 v17, -v17, v17, s18
	v_dual_cndmask_b32 v35, -v88, v88, s18 :: v_dual_cndmask_b32 v37, -v38, v38, s18
	v_cndmask_b32_e64 v38, -v89, v89, s18
	ds_bpermute_b32 v81, v134, v18
	ds_bpermute_b32 v88, v134, v90
	;; [unrolled: 1-line block ×5, first 2 shown]
	s_wait_dscnt 0x8
	v_dual_add_f32 v80, v34, v80 :: v_dual_add_f32 v17, v17, v135
	s_wait_dscnt 0x6
	v_dual_add_f32 v135, v35, v137 :: v_dual_add_f32 v137, v37, v139
	s_wait_dscnt 0x5
	v_add_f32_e32 v139, v38, v141
	v_dual_cndmask_b32 v18, -v18, v18, s18 :: v_dual_cndmask_b32 v35, -v49, v49, s18
	v_dual_cndmask_b32 v34, -v90, v90, s18 :: v_dual_cndmask_b32 v37, -v91, v91, s18
	ds_bpermute_b32 v38, v134, v92
	ds_bpermute_b32 v49, v134, v39
	;; [unrolled: 1-line block ×4, first 2 shown]
	v_cndmask_b32_e64 v28, -v28, v28, s18
	ds_bpermute_b32 v90, v134, v93
	s_wait_dscnt 0x9
	v_add_f32_e32 v18, v18, v81
	s_wait_dscnt 0x7
	v_dual_add_f32 v81, v34, v88 :: v_dual_add_f32 v88, v35, v89
	s_wait_dscnt 0x5
	v_dual_add_f32 v89, v37, v142 :: v_dual_add_f32 v28, v28, v143
	v_dual_cndmask_b32 v34, -v92, v92, s18 :: v_dual_cndmask_b32 v35, -v39, v39, s18
	v_dual_cndmask_b32 v37, -v93, v93, s18 :: v_dual_cndmask_b32 v39, -v94, v94, s18
	v_cndmask_b32_e64 v29, -v29, v29, s18
	ds_bpermute_b32 v92, v134, v61
	ds_bpermute_b32 v93, v134, v95
	;; [unrolled: 1-line block ×5, first 2 shown]
	s_wait_dscnt 0x8
	v_dual_add_f32 v144, v34, v38 :: v_dual_add_f32 v145, v35, v49
	s_wait_dscnt 0x6
	v_dual_add_f32 v29, v29, v91 :: v_dual_add_f32 v91, v39, v141
	v_dual_cndmask_b32 v34, -v61, v61, s18 :: v_dual_cndmask_b32 v35, -v95, v95, s18
	v_cndmask_b32_e64 v38, -v44, v44, s18
	ds_bpermute_b32 v39, v134, v99
	ds_bpermute_b32 v44, v134, v19
	ds_bpermute_b32 v49, v134, v100
	ds_bpermute_b32 v61, v134, v54
	ds_bpermute_b32 v95, v134, v102
	s_wait_dscnt 0xa
	v_dual_add_f32 v90, v37, v90 :: v_dual_cndmask_b32 v31, -v31, v31, s18
	v_cndmask_b32_e64 v37, -v98, v98, s18
	s_wait_dscnt 0x8
	v_dual_add_f32 v92, v34, v92 :: v_dual_add_f32 v93, v35, v93
	v_dual_cndmask_b32 v34, -v99, v99, s18 :: v_dual_cndmask_b32 v35, -v100, v100, s18
	s_wait_dscnt 0x7
	v_add_f32_e32 v31, v31, v94
	s_wait_dscnt 0x5
	v_dual_add_f32 v94, v37, v142 :: v_dual_add_f32 v98, v38, v143
	v_dual_cndmask_b32 v19, -v19, v19, s18 :: v_dual_cndmask_b32 v37, -v54, v54, s18
	v_cndmask_b32_e64 v38, -v102, v102, s18
	ds_bpermute_b32 v54, v134, v24
	ds_bpermute_b32 v99, v134, v103
	;; [unrolled: 1-line block ×5, first 2 shown]
	s_wait_dscnt 0x7
	v_dual_add_f32 v142, v34, v39 :: v_dual_add_f32 v143, v35, v49
	s_wait_dscnt 0x6
	v_dual_add_f32 v19, v19, v44 :: v_dual_add_f32 v146, v37, v61
	s_wait_dscnt 0x5
	v_dual_add_f32 v95, v38, v95 :: v_dual_cndmask_b32 v35, -v57, v57, s18
	v_cndmask_b32_e64 v37, -v104, v104, s18
	ds_bpermute_b32 v38, v134, v105
	ds_bpermute_b32 v39, v134, v58
	;; [unrolled: 1-line block ×4, first 2 shown]
	v_dual_cndmask_b32 v24, -v24, v24, s18 :: v_dual_cndmask_b32 v34, -v103, v103, s18
	ds_bpermute_b32 v49, v134, v27
	v_cndmask_b32_e64 v26, -v26, v26, s18
	ds_bpermute_b32 v61, v134, v108
	s_wait_dscnt 0x9
	v_dual_add_f32 v24, v24, v54 :: v_dual_add_f32 v99, v34, v99
	s_wait_dscnt 0x7
	v_dual_add_f32 v100, v35, v100 :: v_dual_add_f32 v102, v37, v102
	s_wait_dscnt 0x6
	v_add_f32_e32 v26, v26, v141
	v_dual_cndmask_b32 v34, -v105, v105, s18 :: v_dual_cndmask_b32 v35, -v58, v58, s18
	v_dual_cndmask_b32 v37, -v106, v106, s18 :: v_dual_cndmask_b32 v27, -v27, v27, s18
	v_cndmask_b32_e64 v54, -v107, v107, s18
	ds_bpermute_b32 v58, v134, v62
	ds_bpermute_b32 v103, v134, v32
	;; [unrolled: 1-line block ×4, first 2 shown]
	s_wait_dscnt 0x8
	v_dual_add_f32 v106, v34, v38 :: v_dual_add_f32 v107, v35, v39
	s_wait_dscnt 0x6
	v_dual_add_f32 v141, v37, v44 :: v_dual_add_f32 v147, v54, v57
	v_cndmask_b32_e64 v35, -v108, v108, s18
	ds_bpermute_b32 v39, v134, v110
	ds_bpermute_b32 v44, v134, v40
	;; [unrolled: 1-line block ×4, first 2 shown]
	s_wait_dscnt 0x9
	v_dual_add_f32 v27, v27, v49 :: v_dual_cndmask_b32 v34, -v62, v62, s18
	v_dual_cndmask_b32 v32, -v32, v32, s18 :: v_dual_cndmask_b32 v37, -v109, v109, s18
	v_cndmask_b32_e64 v38, -v73, v73, s18
	ds_bpermute_b32 v49, v134, v111
	s_wait_dscnt 0x8
	v_dual_add_f32 v109, v35, v61 :: v_dual_add_f32 v108, v34, v58
	s_wait_dscnt 0x6
	v_dual_add_f32 v103, v32, v103 :: v_dual_add_f32 v104, v37, v104
	s_wait_dscnt 0x5
	v_add_f32_e32 v148, v38, v105
	v_dual_cndmask_b32 v32, -v110, v110, s18 :: v_dual_cndmask_b32 v34, -v40, v40, s18
	v_dual_cndmask_b32 v35, -v111, v111, s18 :: v_dual_cndmask_b32 v38, -v112, v112, s18
	v_cndmask_b32_e64 v37, -v63, v63, s18
	ds_bpermute_b32 v40, v134, v33
	ds_bpermute_b32 v58, v134, v113
	;; [unrolled: 1-line block ×5, first 2 shown]
	s_wait_dscnt 0x8
	v_dual_add_f32 v110, v32, v39 :: v_dual_add_f32 v111, v34, v44
	s_wait_dscnt 0x6
	v_dual_add_f32 v149, v37, v54 :: v_dual_add_f32 v150, v38, v57
	ds_bpermute_b32 v37, v134, v115
	ds_bpermute_b32 v38, v134, v68
	;; [unrolled: 1-line block ×4, first 2 shown]
	s_wait_dscnt 0x9
	v_add_f32_e32 v112, v35, v49
	v_dual_cndmask_b32 v32, -v33, v33, s18 :: v_dual_cndmask_b32 v34, -v87, v87, s18
	v_dual_cndmask_b32 v33, -v113, v113, s18 :: v_dual_cndmask_b32 v35, -v114, v114, s18
	ds_bpermute_b32 v49, v134, v117
	v_cndmask_b32_e64 v36, -v36, v36, s18
	s_wait_dscnt 0x8
	v_dual_add_f32 v113, v32, v40 :: v_dual_add_f32 v114, v33, v58
	s_wait_dscnt 0x6
	v_dual_add_f32 v151, v34, v61 :: v_dual_add_f32 v152, v35, v62
	s_wait_dscnt 0x5
	v_add_f32_e32 v153, v36, v63
	v_dual_cndmask_b32 v32, -v115, v115, s18 :: v_dual_cndmask_b32 v33, -v68, v68, s18
	v_dual_cndmask_b32 v34, -v116, v116, s18 :: v_dual_cndmask_b32 v35, -v41, v41, s18
	ds_bpermute_b32 v40, v134, v82
	ds_bpermute_b32 v41, v134, v118
	;; [unrolled: 1-line block ×5, first 2 shown]
	s_wait_dscnt 0x7
	v_dual_cndmask_b32 v36, -v117, v117, s18 :: v_dual_add_f32 v117, v34, v39
	v_dual_add_f32 v115, v32, v37 :: v_dual_add_f32 v116, v33, v38
	s_wait_dscnt 0x5
	s_delay_alu instid0(VALU_DEP_2)
	v_dual_add_f32 v154, v35, v44 :: v_dual_add_f32 v155, v36, v49
	v_dual_cndmask_b32 v32, -v82, v82, s18 :: v_dual_cndmask_b32 v35, -v119, v119, s18
	v_cndmask_b32_e64 v34, -v42, v42, s18
	ds_bpermute_b32 v37, v134, v120
	ds_bpermute_b32 v38, v134, v43
	;; [unrolled: 1-line block ×5, first 2 shown]
	v_dual_cndmask_b32 v33, -v118, v118, s18 :: v_dual_cndmask_b32 v36, -v83, v83, s18
	s_wait_dscnt 0x7
	v_dual_add_f32 v156, v32, v40 :: v_dual_add_f32 v158, v34, v54
	s_wait_dscnt 0x6
	v_add_f32_e32 v159, v35, v57
	s_wait_dscnt 0x5
	v_dual_add_f32 v157, v33, v41 :: v_dual_add_f32 v160, v36, v58
	v_dual_cndmask_b32 v32, -v120, v120, s18 :: v_dual_cndmask_b32 v33, -v43, v43, s18
	v_dual_cndmask_b32 v34, -v121, v121, s18 :: v_dual_cndmask_b32 v35, -v84, v84, s18
	v_cndmask_b32_e64 v36, -v129, v129, s18
	ds_bpermute_b32 v40, v134, v45
	ds_bpermute_b32 v41, v134, v131
	;; [unrolled: 1-line block ×5, first 2 shown]
	s_wait_dscnt 0x8
	v_dual_add_f32 v84, v32, v37 :: v_dual_add_f32 v161, v33, v38
	s_wait_dscnt 0x6
	v_dual_add_f32 v162, v34, v39 :: v_dual_add_f32 v163, v35, v42
	s_wait_dscnt 0x5
	v_add_f32_e32 v164, v36, v44
	ds_bpermute_b32 v36, v134, v125
	ds_bpermute_b32 v38, v134, v132
	;; [unrolled: 1-line block ×4, first 2 shown]
	v_dual_cndmask_b32 v32, -v45, v45, s18 :: v_dual_cndmask_b32 v33, -v131, v131, s18
	v_dual_cndmask_b32 v34, -v85, v85, s18 :: v_dual_cndmask_b32 v35, -v128, v128, s18
	v_cndmask_b32_e64 v44, -v46, v46, s18
	ds_bpermute_b32 v42, v134, v124
	s_wait_dscnt 0x8
	v_dual_add_f32 v85, v32, v40 :: v_dual_add_f32 v131, v33, v41
	s_wait_dscnt 0x6
	v_dual_add_f32 v166, v35, v49 :: v_dual_add_f32 v167, v44, v54
	v_dual_cndmask_b32 v32, -v125, v125, s18 :: v_dual_cndmask_b32 v41, -v132, v132, s18
	ds_bpermute_b32 v33, v134, v86
	ds_bpermute_b32 v44, v134, v11
	s_wait_dscnt 0x7
	v_dual_add_f32 v165, v34, v43 :: v_dual_cndmask_b32 v34, -v101, v101, s18
	v_cndmask_b32_e64 v43, -v47, v47, s18
	ds_bpermute_b32 v35, v134, v130
	ds_bpermute_b32 v40, v134, v48
	s_wait_dscnt 0x6
	v_dual_cndmask_b32 v45, -v124, v124, s18 :: v_dual_add_f32 v125, v34, v37
	v_dual_add_f32 v124, v32, v36 :: v_dual_add_f32 v168, v41, v38
	v_dual_cndmask_b32 v11, -v11, v11, s18 :: v_dual_bitop2_b32 v41, 16, v2 bitop3:0x14
	s_wait_dscnt 0x4
	s_delay_alu instid0(VALU_DEP_3)
	v_dual_add_f32 v169, v43, v39 :: v_dual_add_f32 v170, v45, v42
	ds_bpermute_b32 v37, v134, v96
	ds_bpermute_b32 v39, v134, v53
	v_cmp_gt_i32_e64 s19, 32, v41
	v_dual_cndmask_b32 v32, -v86, v86, s18 :: v_dual_cndmask_b32 v36, -v48, v48, s18
	ds_bpermute_b32 v38, v134, v127
	v_cndmask_b32_e64 v34, -v130, v130, s18
	s_wait_dscnt 0x5
	v_dual_cndmask_b32 v2, v2, v41, s19 :: v_dual_add_f32 v173, v11, v44
	v_add_f32_e32 v130, v32, v33
	s_wait_dscnt 0x4
	v_dual_cndmask_b32 v33, -v53, v53, s18 :: v_dual_add_f32 v171, v34, v35
	s_wait_dscnt 0x3
	v_dual_add_f32 v172, v36, v40 :: v_dual_lshlrev_b32 v174, 2, v2
	v_dual_cndmask_b32 v11, -v96, v96, s18 :: v_dual_cndmask_b32 v32, -v127, v127, s18
	ds_bpermute_b32 v2, v134, v4
	ds_bpermute_b32 v34, v134, v97
	;; [unrolled: 1-line block ×4, first 2 shown]
	s_wait_dscnt 0x5
	v_dual_add_f32 v175, v11, v37 :: v_dual_add_f32 v177, v33, v39
	v_and_b32_e32 v11, 16, v0
	v_dual_cndmask_b32 v4, -v4, v4, s18 :: v_dual_cndmask_b32 v33, -v126, v126, s18
	s_wait_dscnt 0x4
	v_dual_add_f32 v176, v32, v38 :: v_dual_cndmask_b32 v32, -v97, v97, s18
	v_cndmask_b32_e64 v37, -v50, v50, s18
	v_cmp_eq_u32_e64 s18, 0, v11
	ds_bpermute_b32 v36, v134, v50
	ds_bpermute_b32 v38, v174, v12
	ds_bpermute_b32 v39, v174, v52
	ds_bpermute_b32 v41, v174, v8
	v_cndmask_b32_e64 v11, -v51, v51, s18
	ds_bpermute_b32 v42, v174, v55
	ds_bpermute_b32 v43, v174, v9
	;; [unrolled: 1-line block ×3, first 2 shown]
	s_wait_dscnt 0x8
	v_dual_add_f32 v179, v32, v34 :: v_dual_add_f32 v180, v33, v35
	s_wait_dscnt 0x7
	v_dual_add_f32 v178, v4, v2 :: v_dual_add_f32 v32, v11, v40
	v_dual_cndmask_b32 v2, -v12, v12, s18 :: v_dual_cndmask_b32 v11, -v55, v55, s18
	ds_bpermute_b32 v12, v174, v56
	ds_bpermute_b32 v40, v174, v3
	;; [unrolled: 1-line block ×3, first 2 shown]
	v_dual_cndmask_b32 v4, -v52, v52, s18 :: v_dual_cndmask_b32 v9, -v9, v9, s18
	v_cndmask_b32_e64 v8, -v8, v8, s18
	ds_bpermute_b32 v45, v174, v13
	s_wait_dscnt 0x9
	v_dual_add_f32 v181, v37, v36 :: v_dual_add_f32 v33, v2, v38
	s_wait_dscnt 0x8
	v_add_f32_e32 v34, v4, v39
	s_wait_dscnt 0x6
	v_dual_add_f32 v35, v8, v41 :: v_dual_add_f32 v36, v11, v42
	s_wait_dscnt 0x5
	v_dual_add_f32 v37, v9, v43 :: v_dual_cndmask_b32 v2, -v56, v56, s18
	v_cndmask_b32_e64 v3, -v3, v3, s18
	v_dual_cndmask_b32 v4, -v59, v59, s18 :: v_dual_cndmask_b32 v8, -v13, v13, s18
	v_cndmask_b32_e64 v9, -v60, v60, s18
	ds_bpermute_b32 v11, v174, v10
	ds_bpermute_b32 v13, v174, v64
	;; [unrolled: 1-line block ×5, first 2 shown]
	s_wait_dscnt 0x8
	v_add_f32_e32 v38, v2, v12
	s_wait_dscnt 0x7
	v_dual_cndmask_b32 v2, -v10, v10, s18 :: v_dual_add_f32 v39, v3, v40
	s_wait_dscnt 0x6
	v_dual_add_f32 v42, v9, v46 :: v_dual_add_f32 v40, v4, v44
	v_cndmask_b32_e64 v4, -v14, v14, s18
	ds_bpermute_b32 v9, v174, v66
	ds_bpermute_b32 v10, v174, v25
	;; [unrolled: 1-line block ×5, first 2 shown]
	s_wait_dscnt 0xa
	v_add_f32_e32 v41, v8, v45
	v_dual_cndmask_b32 v3, -v64, v64, s18 :: v_dual_cndmask_b32 v8, -v65, v65, s18
	s_wait_dscnt 0x9
	v_dual_cndmask_b32 v5, -v5, v5, s18 :: v_dual_add_f32 v43, v2, v11
	s_wait_dscnt 0x8
	s_delay_alu instid0(VALU_DEP_2)
	v_dual_cndmask_b32 v2, -v66, v66, s18 :: v_dual_add_f32 v44, v3, v13
	s_wait_dscnt 0x7
	v_add_f32_e32 v45, v4, v47
	s_wait_dscnt 0x5
	v_dual_add_f32 v46, v8, v48 :: v_dual_add_f32 v47, v5, v49
	v_dual_cndmask_b32 v3, -v25, v25, s18 :: v_dual_cndmask_b32 v4, -v67, v67, s18
	v_dual_cndmask_b32 v5, -v16, v16, s18 :: v_dual_cndmask_b32 v8, -v69, v69, s18
	ds_bpermute_b32 v11, v174, v15
	ds_bpermute_b32 v13, v174, v70
	;; [unrolled: 1-line block ×5, first 2 shown]
	s_wait_dscnt 0x7
	v_dual_add_f32 v52, v2, v9 :: v_dual_add_f32 v54, v4, v12
	v_add_f32_e32 v53, v3, v10
	s_wait_dscnt 0x6
	v_dual_add_f32 v55, v5, v14 :: v_dual_cndmask_b32 v2, -v15, v15, s18
	s_wait_dscnt 0x5
	v_dual_add_f32 v48, v8, v50 :: v_dual_cndmask_b32 v5, -v71, v71, s18
	ds_bpermute_b32 v8, v174, v72
	ds_bpermute_b32 v9, v174, v21
	;; [unrolled: 1-line block ×5, first 2 shown]
	v_cndmask_b32_e64 v3, -v70, v70, s18
	v_dual_cndmask_b32 v4, -v6, v6, s18 :: v_dual_cndmask_b32 v6, -v133, v133, s18
	ds_bpermute_b32 v15, v174, v30
	s_wait_dscnt 0x0
	v_dual_add_f32 v50, v3, v13 :: v_dual_add_f32 v49, v2, v11
	v_dual_add_f32 v51, v4, v16 :: v_dual_add_f32 v56, v5, v25
	v_dual_cndmask_b32 v2, -v72, v72, s18 :: v_dual_add_f32 v57, v6, v57
	v_dual_cndmask_b32 v4, -v136, v136, s18 :: v_dual_cndmask_b32 v3, -v21, v21, s18
	v_dual_cndmask_b32 v5, -v20, v20, s18 :: v_dual_cndmask_b32 v6, -v74, v74, s18
	ds_bpermute_b32 v11, v174, v22
	ds_bpermute_b32 v13, v174, v75
	;; [unrolled: 1-line block ×4, first 2 shown]
	v_dual_add_f32 v58, v2, v8 :: v_dual_add_f32 v64, v4, v10
	v_dual_add_f32 v59, v3, v9 :: v_dual_add_f32 v65, v5, v12
	v_add_f32_e32 v66, v6, v14
	ds_bpermute_b32 v8, v174, v77
	ds_bpermute_b32 v9, v174, v78
	;; [unrolled: 1-line block ×5, first 2 shown]
	v_dual_cndmask_b32 v2, -v22, v22, s18 :: v_dual_cndmask_b32 v3, -v75, v75, s18
	v_dual_cndmask_b32 v4, -v30, v30, s18 :: v_dual_cndmask_b32 v5, -v76, v76, s18
	v_cndmask_b32_e64 v6, -v23, v23, s18
	ds_bpermute_b32 v21, v174, v124
	s_wait_dscnt 0x8
	v_dual_add_f32 v67, v2, v11 :: v_dual_add_f32 v60, v3, v13
	s_wait_dscnt 0x7
	v_dual_add_f32 v62, v5, v16 :: v_dual_add_f32 v61, v4, v15
	s_wait_dscnt 0x6
	v_dual_add_f32 v63, v6, v20 :: v_dual_cndmask_b32 v2, -v77, v77, s18
	v_cndmask_b32_e64 v3, -v78, v78, s18
	v_dual_cndmask_b32 v4, -v138, v138, s18 :: v_dual_cndmask_b32 v5, -v7, v7, s18
	s_wait_dscnt 0x5
	s_delay_alu instid0(VALU_DEP_3)
	v_dual_cndmask_b32 v6, -v79, v79, s18 :: v_dual_add_f32 v68, v2, v8
	ds_bpermute_b32 v7, v174, v140
	ds_bpermute_b32 v11, v174, v80
	;; [unrolled: 1-line block ×5, first 2 shown]
	s_wait_dscnt 0x8
	v_dual_add_f32 v69, v3, v9 :: v_dual_add_f32 v70, v4, v10
	s_wait_dscnt 0x6
	v_dual_add_f32 v71, v5, v12 :: v_dual_add_f32 v72, v6, v14
	ds_bpermute_b32 v8, v174, v139
	ds_bpermute_b32 v9, v174, v18
	;; [unrolled: 1-line block ×5, first 2 shown]
	v_dual_cndmask_b32 v2, -v140, v140, s18 :: v_dual_cndmask_b32 v4, -v17, v17, s18
	v_dual_cndmask_b32 v3, -v80, v80, s18 :: v_dual_cndmask_b32 v5, -v135, v135, s18
	v_cndmask_b32_e64 v6, -v137, v137, s18
	ds_bpermute_b32 v17, v174, v131
	s_wait_dscnt 0xa
	v_add_f32_e32 v73, v2, v7
	s_wait_dscnt 0x8
	v_dual_add_f32 v74, v3, v11 :: v_dual_add_f32 v75, v4, v13
	s_wait_dscnt 0x6
	v_dual_add_f32 v76, v5, v15 :: v_dual_add_f32 v77, v6, v16
	v_dual_cndmask_b32 v2, -v139, v139, s18 :: v_dual_cndmask_b32 v3, -v18, v18, s18
	v_dual_cndmask_b32 v4, -v81, v81, s18 :: v_dual_cndmask_b32 v5, -v88, v88, s18
	s_wait_dscnt 0x5
	s_delay_alu instid0(VALU_DEP_2)
	v_dual_cndmask_b32 v6, -v89, v89, s18 :: v_dual_add_f32 v78, v2, v8
	ds_bpermute_b32 v7, v174, v28
	ds_bpermute_b32 v11, v174, v144
	;; [unrolled: 1-line block ×5, first 2 shown]
	s_wait_dscnt 0x8
	v_dual_add_f32 v79, v3, v9 :: v_dual_add_f32 v80, v4, v10
	s_wait_dscnt 0x6
	v_dual_add_f32 v81, v5, v12 :: v_dual_add_f32 v82, v6, v14
	ds_bpermute_b32 v8, v174, v91
	ds_bpermute_b32 v9, v174, v92
	;; [unrolled: 1-line block ×5, first 2 shown]
	v_dual_cndmask_b32 v2, -v28, v28, s18 :: v_dual_cndmask_b32 v4, -v145, v145, s18
	v_dual_cndmask_b32 v3, -v144, v144, s18 :: v_dual_cndmask_b32 v5, -v90, v90, s18
	v_cndmask_b32_e64 v6, -v29, v29, s18
	ds_bpermute_b32 v18, v174, v165
	s_wait_dscnt 0xa
	v_add_f32_e32 v83, v2, v7
	s_wait_dscnt 0x8
	v_dual_add_f32 v118, v3, v11 :: v_dual_add_f32 v119, v4, v13
	s_wait_dscnt 0x6
	v_dual_add_f32 v120, v5, v15 :: v_dual_add_f32 v121, v6, v16
	v_dual_cndmask_b32 v2, -v91, v91, s18 :: v_dual_cndmask_b32 v3, -v92, v92, s18
	v_dual_cndmask_b32 v4, -v93, v93, s18 :: v_dual_cndmask_b32 v5, -v31, v31, s18
	v_cndmask_b32_e64 v6, -v94, v94, s18
	ds_bpermute_b32 v7, v174, v98
	ds_bpermute_b32 v11, v174, v142
	;; [unrolled: 1-line block ×5, first 2 shown]
	s_wait_dscnt 0x8
	v_dual_add_f32 v126, v2, v8 :: v_dual_add_f32 v128, v4, v10
	s_wait_dscnt 0x7
	v_dual_add_f32 v127, v3, v9 :: v_dual_add_f32 v129, v5, v12
	s_wait_dscnt 0x6
	v_add_f32_e32 v132, v6, v14
	ds_bpermute_b32 v8, v174, v95
	ds_bpermute_b32 v9, v174, v24
	;; [unrolled: 1-line block ×5, first 2 shown]
	v_dual_cndmask_b32 v2, -v98, v98, s18 :: v_dual_cndmask_b32 v4, -v19, v19, s18
	v_dual_cndmask_b32 v3, -v142, v142, s18 :: v_dual_cndmask_b32 v5, -v143, v143, s18
	v_cndmask_b32_e64 v6, -v146, v146, s18
	s_wait_dscnt 0x9
	s_delay_alu instid0(VALU_DEP_3)
	v_add_f32_e32 v133, v2, v7
	v_cndmask_b32_e64 v2, -v95, v95, s18
	s_wait_dscnt 0x7
	v_dual_add_f32 v134, v3, v11 :: v_dual_add_f32 v135, v4, v13
	s_wait_dscnt 0x5
	v_dual_add_f32 v86, v5, v15 :: v_dual_add_f32 v87, v6, v16
	v_dual_cndmask_b32 v3, -v24, v24, s18 :: v_dual_cndmask_b32 v4, -v99, v99, s18
	v_dual_cndmask_b32 v5, -v100, v100, s18 :: v_dual_cndmask_b32 v6, -v102, v102, s18
	ds_bpermute_b32 v7, v174, v26
	ds_bpermute_b32 v11, v174, v106
	;; [unrolled: 1-line block ×5, first 2 shown]
	s_wait_dscnt 0x7
	v_dual_add_f32 v88, v2, v8 :: v_dual_add_f32 v90, v4, v10
	s_wait_dscnt 0x6
	v_dual_add_f32 v89, v3, v9 :: v_dual_add_f32 v91, v5, v12
	s_wait_dscnt 0x5
	v_add_f32_e32 v92, v6, v14
	ds_bpermute_b32 v8, v174, v147
	ds_bpermute_b32 v9, v174, v108
	;; [unrolled: 1-line block ×5, first 2 shown]
	v_dual_cndmask_b32 v2, -v26, v26, s18 :: v_dual_cndmask_b32 v4, -v107, v107, s18
	v_dual_cndmask_b32 v3, -v106, v106, s18 :: v_dual_cndmask_b32 v5, -v141, v141, s18
	v_cndmask_b32_e64 v6, -v27, v27, s18
	s_wait_dscnt 0x9
	s_delay_alu instid0(VALU_DEP_3)
	v_add_f32_e32 v93, v2, v7
	s_wait_dscnt 0x7
	v_dual_cndmask_b32 v2, -v147, v147, s18 :: v_dual_add_f32 v95, v4, v13
	s_wait_dscnt 0x5
	v_dual_add_f32 v94, v3, v11 :: v_dual_add_f32 v97, v6, v16
	v_dual_add_f32 v96, v5, v15 :: v_dual_cndmask_b32 v6, -v104, v104, s18
	v_dual_cndmask_b32 v3, -v108, v108, s18 :: v_dual_cndmask_b32 v4, -v109, v109, s18
	s_wait_dscnt 0x4
	v_dual_cndmask_b32 v5, -v103, v103, s18 :: v_dual_add_f32 v102, v2, v8
	ds_bpermute_b32 v7, v174, v148
	ds_bpermute_b32 v11, v174, v110
	;; [unrolled: 1-line block ×5, first 2 shown]
	s_wait_dscnt 0x7
	v_dual_add_f32 v103, v3, v9 :: v_dual_add_f32 v104, v4, v10
	s_wait_dscnt 0x5
	v_dual_add_f32 v105, v5, v12 :: v_dual_add_f32 v98, v6, v14
	ds_bpermute_b32 v8, v174, v150
	ds_bpermute_b32 v9, v174, v113
	;; [unrolled: 1-line block ×5, first 2 shown]
	v_dual_cndmask_b32 v2, -v148, v148, s18 :: v_dual_cndmask_b32 v3, -v110, v110, s18
	v_dual_cndmask_b32 v4, -v111, v111, s18 :: v_dual_cndmask_b32 v5, -v112, v112, s18
	;; [unrolled: 1-line block ×3, first 2 shown]
	s_wait_dscnt 0x9
	s_delay_alu instid0(VALU_DEP_3)
	v_add_f32_e32 v99, v2, v7
	s_wait_dscnt 0x7
	v_dual_add_f32 v100, v3, v11 :: v_dual_add_f32 v101, v4, v13
	s_wait_dscnt 0x5
	v_dual_add_f32 v106, v5, v15 :: v_dual_add_f32 v107, v6, v16
	v_dual_cndmask_b32 v2, -v150, v150, s18 :: v_dual_cndmask_b32 v3, -v113, v113, s18
	v_dual_cndmask_b32 v4, -v114, v114, s18 :: v_dual_cndmask_b32 v5, -v151, v151, s18
	v_cndmask_b32_e64 v6, -v152, v152, s18
	ds_bpermute_b32 v7, v174, v153
	ds_bpermute_b32 v11, v174, v115
	;; [unrolled: 1-line block ×5, first 2 shown]
	s_wait_dscnt 0x7
	v_dual_add_f32 v108, v2, v8 :: v_dual_add_f32 v110, v4, v10
	s_wait_dscnt 0x6
	v_dual_add_f32 v109, v3, v9 :: v_dual_add_f32 v111, v5, v12
	s_wait_dscnt 0x5
	v_add_f32_e32 v112, v6, v14
	ds_bpermute_b32 v6, v174, v155
	ds_bpermute_b32 v8, v174, v156
	;; [unrolled: 1-line block ×5, first 2 shown]
	v_dual_cndmask_b32 v2, -v153, v153, s18 :: v_dual_cndmask_b32 v3, -v115, v115, s18
	v_dual_cndmask_b32 v4, -v116, v116, s18 :: v_dual_cndmask_b32 v5, -v117, v117, s18
	v_cndmask_b32_e64 v14, -v154, v154, s18
	s_wait_dscnt 0x9
	s_delay_alu instid0(VALU_DEP_3)
	v_add_f32_e32 v113, v2, v7
	s_wait_dscnt 0x7
	v_dual_add_f32 v114, v3, v11 :: v_dual_add_f32 v115, v4, v13
	s_wait_dscnt 0x5
	v_dual_add_f32 v116, v5, v15 :: v_dual_add_f32 v117, v14, v16
	v_dual_cndmask_b32 v2, -v155, v155, s18 :: v_dual_cndmask_b32 v3, -v156, v156, s18
	v_dual_cndmask_b32 v4, -v157, v157, s18 :: v_dual_cndmask_b32 v11, -v158, v158, s18
	ds_bpermute_b32 v5, v174, v160
	ds_bpermute_b32 v13, v174, v84
	;; [unrolled: 1-line block ×4, first 2 shown]
	s_wait_dscnt 0x8
	v_dual_cndmask_b32 v16, -v159, v159, s18 :: v_dual_add_f32 v6, v2, v6
	s_wait_dscnt 0x6
	v_dual_add_f32 v7, v3, v8 :: v_dual_add_f32 v8, v4, v9
	s_wait_dscnt 0x4
	s_delay_alu instid0(VALU_DEP_2)
	v_dual_add_f32 v9, v11, v10 :: v_dual_add_f32 v2, v16, v12
	ds_bpermute_b32 v11, v174, v163
	ds_bpermute_b32 v12, v174, v164
	;; [unrolled: 1-line block ×3, first 2 shown]
	v_dual_cndmask_b32 v3, -v160, v160, s18 :: v_dual_cndmask_b32 v10, -v161, v161, s18
	v_cndmask_b32_e64 v4, -v84, v84, s18
	ds_bpermute_b32 v20, v174, v166
	ds_bpermute_b32 v22, v174, v125
	v_cndmask_b32_e64 v23, -v131, v131, s18
	ds_bpermute_b32 v25, v174, v170
	s_wait_dscnt 0x9
	v_add_f32_e32 v3, v3, v5
	s_wait_dscnt 0x7
	v_dual_add_f32 v4, v4, v13 :: v_dual_add_f32 v5, v10, v14
	s_wait_dscnt 0x6
	v_add_f32_e32 v10, v19, v15
	v_dual_cndmask_b32 v13, -v163, v163, s18 :: v_dual_cndmask_b32 v14, -v164, v164, s18
	v_cndmask_b32_e64 v15, -v85, v85, s18
	ds_bpermute_b32 v19, v174, v167
	v_cndmask_b32_e64 v24, -v165, v165, s18
	ds_bpermute_b32 v26, v174, v130
	s_wait_dscnt 0x6
	v_dual_add_f32 v11, v13, v11 :: v_dual_add_f32 v12, v14, v12
	s_wait_dscnt 0x5
	v_dual_add_f32 v13, v15, v16 :: v_dual_cndmask_b32 v16, -v166, v166, s18
	v_dual_add_f32 v14, v23, v17 :: v_dual_add_f32 v15, v24, v18
	v_cndmask_b32_e64 v17, -v167, v167, s18
	ds_bpermute_b32 v23, v174, v168
	ds_bpermute_b32 v24, v174, v169
	;; [unrolled: 1-line block ×3, first 2 shown]
	s_wait_dscnt 0x7
	v_dual_add_f32 v16, v16, v20 :: v_dual_cndmask_b32 v20, -v125, v125, s18
	v_cndmask_b32_e64 v18, -v124, v124, s18
	ds_bpermute_b32 v28, v174, v172
	ds_bpermute_b32 v29, v174, v173
	;; [unrolled: 1-line block ×5, first 2 shown]
	s_wait_dscnt 0x9
	v_dual_add_f32 v17, v17, v19 :: v_dual_add_f32 v18, v18, v21
	v_add_f32_e32 v19, v20, v22
	v_dual_cndmask_b32 v20, -v168, v168, s18 :: v_dual_cndmask_b32 v21, -v169, v169, s18
	v_cndmask_b32_e64 v22, -v170, v170, s18
	ds_bpermute_b32 v85, v174, v178
	ds_bpermute_b32 v124, v174, v179
	v_cndmask_b32_e64 v125, -v176, v176, s18
	s_wait_dscnt 0x8
	v_dual_add_f32 v20, v20, v23 :: v_dual_add_f32 v21, v21, v24
	v_dual_cndmask_b32 v23, -v130, v130, s18 :: v_dual_cndmask_b32 v24, -v171, v171, s18
	v_dual_add_f32 v22, v22, v25 :: v_dual_cndmask_b32 v25, -v172, v172, s18
	s_delay_alu instid0(VALU_DEP_2) | instskip(SKIP_1) | instid1(VALU_DEP_3)
	v_dual_cndmask_b32 v136, -v181, v181, s18 :: v_dual_add_f32 v23, v23, v26
	s_wait_dscnt 0x7
	v_dual_add_f32 v24, v24, v27 :: v_dual_cndmask_b32 v26, -v173, v173, s18
	v_dual_cndmask_b32 v27, -v175, v175, s18 :: v_dual_cndmask_b32 v130, -v177, v177, s18
	s_wait_dscnt 0x6
	v_add_f32_e32 v25, v25, v28
	s_barrier_signal -1
	s_wait_dscnt 0x4
	v_dual_add_f32 v26, v26, v29 :: v_dual_add_f32 v27, v27, v30
	s_wait_dscnt 0x2
	v_dual_add_f32 v28, v125, v31 :: v_dual_add_f32 v29, v130, v84
	v_dual_cndmask_b32 v30, -v178, v178, s18 :: v_dual_bitop2_b32 v84, 7, v0 bitop3:0x40
	v_dual_cndmask_b32 v31, -v179, v179, s18 :: v_dual_lshrrev_b32 v125, 5, v0
	v_lshrrev_b32_e32 v130, 3, v0
	s_wait_dscnt 0x1
	s_delay_alu instid0(VALU_DEP_3)
	v_dual_add_f32 v30, v30, v85 :: v_dual_lshlrev_b32 v131, 5, v84
	ds_bpermute_b32 v85, v174, v180
	s_wait_dscnt 0x1
	v_add_f32_e32 v31, v31, v124
	s_barrier_wait -1
	v_bitop3_b32 v84, v131, v84, v130 bitop3:0x36
	ds_bpermute_b32 v131, v174, v181
	v_xor_b32_e32 v124, v125, v0
	s_wait_dscnt 0x0
	s_wait_kmcnt 0x0
	s_mov_b32 s21, s20
	s_delay_alu instid0(VALU_DEP_1)
	v_lshl_add_u32 v130, v124, 4, 0
	v_lshl_add_u32 v124, v84, 4, 0
	ds_store_b128 v130, v[32:35]
	ds_store_b128 v130, v[36:39] offset:4096
	ds_store_b128 v130, v[40:43] offset:8192
	;; [unrolled: 1-line block ×7, first 2 shown]
	s_wait_dscnt 0x0
	s_barrier_signal -1
	s_barrier_wait -1
	ds_load_b128 v[44:47], v124
	v_cndmask_b32_e64 v125, -v180, v180, s18
	s_mul_u64 s[18:19], s[26:27], s[28:29]
	v_add_f32_e32 v33, v136, v131
	ds_load_b128 v[48:51], v124 offset:4096
	ds_load_b128 v[52:55], v124 offset:8192
	;; [unrolled: 1-line block ×7, first 2 shown]
	s_wait_dscnt 0x0
	s_barrier_signal -1
	s_barrier_wait -1
	ds_store_b128 v130, v[60:63]
	ds_store_b128 v130, v[68:71] offset:4096
	ds_store_b128 v130, v[72:75] offset:8192
	;; [unrolled: 1-line block ×7, first 2 shown]
	s_wait_dscnt 0x0
	s_barrier_signal -1
	s_barrier_wait -1
	ds_load_b128 v[38:41], v124 offset:20480
	ds_bpermute_b32 v70, v1, v48
	ds_bpermute_b32 v60, v1, v44
	;; [unrolled: 1-line block ×4, first 2 shown]
	v_dual_cndmask_b32 v63, -v44, v44, s0 :: v_dual_cndmask_b32 v46, -v46, v46, s0
	v_cndmask_b32_e64 v68, -v45, v45, s0
	ds_bpermute_b32 v69, v1, v47
	ds_bpermute_b32 v71, v1, v49
	;; [unrolled: 1-line block ×5, first 2 shown]
	v_dual_cndmask_b32 v47, -v47, v47, s0 :: v_dual_cndmask_b32 v48, -v48, v48, s0
	v_dual_cndmask_b32 v49, -v49, v49, s0 :: v_dual_cndmask_b32 v50, -v50, v50, s0
	v_cndmask_b32_e64 v51, -v51, v51, s0
	ds_bpermute_b32 v74, v1, v55
	v_dual_cndmask_b32 v55, -v55, v55, s0 :: v_dual_cndmask_b32 v56, -v56, v56, s0
	s_wait_dscnt 0x8
	v_dual_add_f32 v48, v48, v70 :: v_dual_add_f32 v60, v63, v60
	s_wait_dscnt 0x6
	v_dual_add_f32 v61, v68, v61 :: v_dual_add_f32 v46, v46, v62
	ds_bpermute_b32 v62, v1, v52
	ds_bpermute_b32 v63, v1, v53
	;; [unrolled: 1-line block ×3, first 2 shown]
	s_wait_dscnt 0x7
	v_dual_add_f32 v47, v47, v69 :: v_dual_add_f32 v49, v49, v71
	s_wait_dscnt 0x5
	v_dual_add_f32 v50, v50, v72 :: v_dual_add_f32 v51, v51, v73
	v_dual_cndmask_b32 v52, -v52, v52, s0 :: v_dual_cndmask_b32 v53, -v53, v53, s0
	v_cndmask_b32_e64 v54, -v54, v54, s0
	ds_bpermute_b32 v69, v1, v57
	ds_bpermute_b32 v70, v1, v58
	;; [unrolled: 1-line block ×5, first 2 shown]
	s_wait_dscnt 0x9
	v_dual_add_f32 v56, v56, v75 :: v_dual_cndmask_b32 v57, -v57, v57, s0
	ds_bpermute_b32 v75, v1, v138
	ds_load_b128 v[42:45], v124 offset:24576
	ds_load_b128 v[34:37], v124 offset:28672
	s_wait_dscnt 0xb
	v_add_f32_e32 v55, v55, v74
	s_wait_dscnt 0x9
	v_dual_add_f32 v52, v52, v62 :: v_dual_add_f32 v53, v53, v63
	s_wait_dscnt 0x8
	v_add_f32_e32 v54, v54, v68
	ds_bpermute_b32 v63, v1, v66
	ds_bpermute_b32 v68, v1, v136
	v_dual_cndmask_b32 v58, -v58, v58, s0 :: v_dual_cndmask_b32 v59, -v59, v59, s0
	v_dual_cndmask_b32 v62, -v64, v64, s0 :: v_dual_cndmask_b32 v65, -v65, v65, s0
	ds_bpermute_b32 v64, v1, v67
	ds_bpermute_b32 v74, v1, v137
	s_wait_dscnt 0xa
	v_dual_add_f32 v57, v57, v69 :: v_dual_add_f32 v58, v58, v70
	s_wait_dscnt 0x8
	v_dual_add_f32 v59, v59, v71 :: v_dual_add_f32 v62, v62, v72
	s_wait_dscnt 0x7
	v_dual_add_f32 v65, v65, v73 :: v_dual_cndmask_b32 v66, -v66, v66, s0
	v_dual_cndmask_b32 v67, -v67, v67, s0 :: v_dual_cndmask_b32 v69, -v136, v136, s0
	ds_bpermute_b32 v70, v1, v139
	ds_bpermute_b32 v71, v1, v140
	;; [unrolled: 1-line block ×4, first 2 shown]
	v_dual_cndmask_b32 v76, -v137, v137, s0 :: v_dual_cndmask_b32 v77, -v138, v138, s0
	s_wait_dscnt 0x6
	v_dual_add_f32 v63, v66, v63 :: v_dual_add_f32 v66, v69, v68
	ds_bpermute_b32 v78, v1, v144
	ds_bpermute_b32 v79, v1, v145
	v_add_f32_e32 v68, v77, v75
	ds_bpermute_b32 v77, v1, v143
	ds_bpermute_b32 v80, v1, v146
	;; [unrolled: 1-line block ×3, first 2 shown]
	v_add_f32_e32 v32, v125, v85
	ds_bpermute_b32 v83, v1, v38
	ds_bpermute_b32 v84, v1, v39
	;; [unrolled: 1-line block ×5, first 2 shown]
	s_wait_dscnt 0xe
	v_dual_add_f32 v64, v67, v64 :: v_dual_add_f32 v67, v76, v74
	v_dual_cndmask_b32 v69, -v139, v139, s0 :: v_dual_cndmask_b32 v75, -v141, v141, s0
	v_dual_cndmask_b32 v74, -v140, v140, s0 :: v_dual_cndmask_b32 v76, -v142, v142, s0
	s_wait_dscnt 0xd
	s_delay_alu instid0(VALU_DEP_2)
	v_dual_cndmask_b32 v82, -v147, v147, s0 :: v_dual_add_f32 v69, v69, v70
	v_dual_cndmask_b32 v38, -v38, v38, s0 :: v_dual_cndmask_b32 v40, -v40, v40, s0
	s_wait_dscnt 0xb
	v_dual_add_f32 v70, v74, v71 :: v_dual_add_f32 v71, v75, v72
	s_wait_dscnt 0xa
	v_dual_add_f32 v72, v76, v73 :: v_dual_cndmask_b32 v73, -v143, v143, s0
	v_dual_cndmask_b32 v74, -v144, v144, s0 :: v_dual_cndmask_b32 v75, -v145, v145, s0
	v_dual_cndmask_b32 v76, -v146, v146, s0 :: v_dual_cndmask_b32 v39, -v39, v39, s0
	s_wait_dscnt 0x7
	s_delay_alu instid0(VALU_DEP_2) | instskip(SKIP_1) | instid1(VALU_DEP_2)
	v_dual_add_f32 v73, v73, v77 :: v_dual_add_f32 v74, v74, v78
	s_wait_dscnt 0x6
	v_dual_add_f32 v75, v75, v79 :: v_dual_add_f32 v76, v76, v80
	s_wait_dscnt 0x5
	v_add_f32_e32 v77, v82, v81
	v_dual_cndmask_b32 v41, -v41, v41, s0 :: v_dual_cndmask_b32 v42, -v42, v42, s0
	ds_bpermute_b32 v78, v1, v43
	ds_bpermute_b32 v79, v1, v44
	;; [unrolled: 1-line block ×5, first 2 shown]
	s_wait_dscnt 0x8
	v_dual_add_f32 v38, v38, v83 :: v_dual_add_f32 v39, v39, v84
	s_wait_dscnt 0x5
	v_dual_add_f32 v40, v40, v85 :: v_dual_add_f32 v42, v42, v126
	v_dual_add_f32 v41, v41, v125 :: v_dual_cndmask_b32 v43, -v43, v43, s0
	ds_bpermute_b32 v83, v1, v36
	ds_bpermute_b32 v84, v1, v37
	;; [unrolled: 1-line block ×5, first 2 shown]
	v_dual_cndmask_b32 v44, -v44, v44, s0 :: v_dual_cndmask_b32 v45, -v45, v45, s0
	v_dual_cndmask_b32 v34, -v34, v34, s0 :: v_dual_cndmask_b32 v35, -v35, v35, s0
	s_wait_dscnt 0x8
	s_delay_alu instid0(VALU_DEP_2) | instskip(SKIP_1) | instid1(VALU_DEP_2)
	v_dual_add_f32 v43, v43, v78 :: v_dual_add_f32 v44, v44, v79
	s_wait_dscnt 0x6
	v_dual_add_f32 v45, v45, v80 :: v_dual_add_f32 v34, v34, v81
	s_wait_dscnt 0x5
	v_dual_add_f32 v35, v35, v82 :: v_dual_cndmask_b32 v36, -v36, v36, s0
	v_dual_cndmask_b32 v37, -v37, v37, s0 :: v_dual_cndmask_b32 v60, -v60, v60, s1
	v_dual_cndmask_b32 v61, -v61, v61, s1 :: v_dual_cndmask_b32 v46, -v46, v46, s1
	ds_bpermute_b32 v78, v122, v47
	ds_bpermute_b32 v79, v122, v48
	;; [unrolled: 1-line block ×5, first 2 shown]
	s_wait_dscnt 0x8
	v_dual_add_f32 v36, v36, v83 :: v_dual_add_f32 v37, v37, v84
	s_wait_dscnt 0x5
	v_dual_add_f32 v60, v60, v85 :: v_dual_add_f32 v46, v46, v126
	v_dual_add_f32 v61, v61, v125 :: v_dual_cndmask_b32 v47, -v47, v47, s1
	ds_bpermute_b32 v83, v122, v52
	ds_bpermute_b32 v84, v122, v53
	;; [unrolled: 1-line block ×5, first 2 shown]
	v_dual_cndmask_b32 v48, -v48, v48, s1 :: v_dual_cndmask_b32 v49, -v49, v49, s1
	v_dual_cndmask_b32 v50, -v50, v50, s1 :: v_dual_cndmask_b32 v51, -v51, v51, s1
	s_wait_dscnt 0x8
	s_delay_alu instid0(VALU_DEP_2) | instskip(SKIP_1) | instid1(VALU_DEP_2)
	v_dual_add_f32 v47, v47, v78 :: v_dual_add_f32 v48, v48, v79
	s_wait_dscnt 0x6
	v_dual_add_f32 v49, v49, v80 :: v_dual_add_f32 v50, v50, v81
	s_wait_dscnt 0x5
	v_dual_add_f32 v51, v51, v82 :: v_dual_cndmask_b32 v52, -v52, v52, s1
	v_dual_cndmask_b32 v53, -v53, v53, s1 :: v_dual_cndmask_b32 v54, -v54, v54, s1
	v_dual_cndmask_b32 v55, -v55, v55, s1 :: v_dual_cndmask_b32 v56, -v56, v56, s1
	ds_bpermute_b32 v78, v122, v57
	ds_bpermute_b32 v79, v122, v58
	;; [unrolled: 1-line block ×5, first 2 shown]
	s_wait_dscnt 0x8
	v_dual_add_f32 v52, v52, v83 :: v_dual_add_f32 v53, v53, v84
	s_wait_dscnt 0x5
	v_dual_add_f32 v54, v54, v85 :: v_dual_add_f32 v56, v56, v126
	v_dual_add_f32 v55, v55, v125 :: v_dual_cndmask_b32 v58, -v58, v58, s1
	ds_bpermute_b32 v83, v122, v63
	ds_bpermute_b32 v84, v122, v64
	ds_bpermute_b32 v85, v122, v66
	ds_bpermute_b32 v125, v122, v67
	ds_bpermute_b32 v126, v122, v68
	v_dual_cndmask_b32 v57, -v57, v57, s1 :: v_dual_cndmask_b32 v59, -v59, v59, s1
	v_dual_cndmask_b32 v62, -v62, v62, s1 :: v_dual_cndmask_b32 v65, -v65, v65, s1
	s_wait_dscnt 0x9
	s_delay_alu instid0(VALU_DEP_2)
	v_dual_cndmask_b32 v63, -v63, v63, s1 :: v_dual_add_f32 v57, v57, v78
	s_wait_dscnt 0x7
	v_dual_add_f32 v58, v58, v79 :: v_dual_add_f32 v59, v59, v80
	s_wait_dscnt 0x5
	v_dual_add_f32 v62, v62, v81 :: v_dual_add_f32 v65, v65, v82
	v_dual_cndmask_b32 v64, -v64, v64, s1 :: v_dual_cndmask_b32 v66, -v66, v66, s1
	v_dual_cndmask_b32 v67, -v67, v67, s1 :: v_dual_cndmask_b32 v68, -v68, v68, s1
	ds_bpermute_b32 v78, v122, v69
	ds_bpermute_b32 v79, v122, v70
	ds_bpermute_b32 v80, v122, v71
	ds_bpermute_b32 v81, v122, v72
	ds_bpermute_b32 v82, v122, v73
	s_wait_dscnt 0x8
	v_dual_add_f32 v63, v63, v83 :: v_dual_add_f32 v64, v64, v84
	s_wait_dscnt 0x5
	v_dual_add_f32 v66, v66, v85 :: v_dual_add_f32 v68, v68, v126
	v_dual_add_f32 v67, v67, v125 :: v_dual_cndmask_b32 v70, -v70, v70, s1
	ds_bpermute_b32 v83, v122, v74
	ds_bpermute_b32 v84, v122, v75
	;; [unrolled: 1-line block ×5, first 2 shown]
	v_dual_cndmask_b32 v69, -v69, v69, s1 :: v_dual_cndmask_b32 v71, -v71, v71, s1
	v_dual_cndmask_b32 v72, -v72, v72, s1 :: v_dual_cndmask_b32 v73, -v73, v73, s1
	;; [unrolled: 1-line block ×3, first 2 shown]
	s_wait_dscnt 0x8
	s_delay_alu instid0(VALU_DEP_3)
	v_dual_add_f32 v69, v69, v78 :: v_dual_add_f32 v70, v70, v79
	s_wait_dscnt 0x6
	v_dual_add_f32 v71, v71, v80 :: v_dual_add_f32 v72, v72, v81
	s_wait_dscnt 0x5
	v_dual_add_f32 v73, v73, v82 :: v_dual_cndmask_b32 v75, -v75, v75, s1
	v_dual_cndmask_b32 v77, -v77, v77, s1 :: v_dual_cndmask_b32 v38, -v38, v38, s1
	ds_bpermute_b32 v78, v122, v39
	ds_bpermute_b32 v79, v122, v40
	;; [unrolled: 1-line block ×5, first 2 shown]
	s_wait_dscnt 0x8
	v_dual_add_f32 v74, v74, v83 :: v_dual_add_f32 v83, v75, v84
	s_wait_dscnt 0x7
	v_add_f32_e32 v84, v76, v85
	s_wait_dscnt 0x5
	v_dual_add_f32 v85, v77, v125 :: v_dual_add_f32 v125, v38, v126
	v_dual_cndmask_b32 v38, -v39, v39, s1 :: v_dual_cndmask_b32 v39, -v40, v40, s1
	v_dual_cndmask_b32 v40, -v41, v41, s1 :: v_dual_cndmask_b32 v41, -v42, v42, s1
	v_cndmask_b32_e64 v42, -v43, v43, s1
	ds_bpermute_b32 v43, v122, v44
	ds_bpermute_b32 v75, v122, v45
	;; [unrolled: 1-line block ×5, first 2 shown]
	s_wait_dscnt 0x8
	v_dual_add_f32 v78, v38, v78 :: v_dual_add_f32 v79, v39, v79
	s_wait_dscnt 0x6
	v_dual_add_f32 v80, v40, v80 :: v_dual_add_f32 v81, v41, v81
	s_wait_dscnt 0x5
	v_dual_add_f32 v82, v42, v82 :: v_dual_cndmask_b32 v38, -v44, v44, s1
	v_dual_cndmask_b32 v39, -v45, v45, s1 :: v_dual_cndmask_b32 v34, -v34, v34, s1
	v_dual_cndmask_b32 v35, -v35, v35, s1 :: v_dual_cndmask_b32 v36, -v36, v36, s1
	ds_bpermute_b32 v40, v122, v37
	ds_bpermute_b32 v41, v123, v60
	;; [unrolled: 1-line block ×5, first 2 shown]
	s_wait_dscnt 0x9
	v_add_f32_e32 v127, v38, v43
	s_wait_dscnt 0x7
	v_dual_add_f32 v128, v39, v75 :: v_dual_add_f32 v129, v34, v76
	s_wait_dscnt 0x5
	v_dual_add_f32 v131, v35, v77 :: v_dual_add_f32 v132, v36, v126
	v_dual_cndmask_b32 v34, -v37, v37, s1 :: v_dual_cndmask_b32 v35, -v60, v60, s17
	v_dual_cndmask_b32 v36, -v61, v61, s17 :: v_dual_cndmask_b32 v37, -v46, v46, s17
	v_cndmask_b32_e64 v38, -v47, v47, s17
	ds_bpermute_b32 v39, v123, v48
	ds_bpermute_b32 v43, v123, v49
	;; [unrolled: 1-line block ×5, first 2 shown]
	s_wait_dscnt 0x8
	v_dual_add_f32 v136, v34, v40 :: v_dual_add_f32 v34, v35, v41
	s_wait_dscnt 0x6
	v_dual_add_f32 v35, v36, v42 :: v_dual_add_f32 v36, v37, v44
	s_wait_dscnt 0x5
	v_dual_add_f32 v37, v38, v45 :: v_dual_cndmask_b32 v38, -v48, v48, s17
	v_dual_cndmask_b32 v40, -v49, v49, s17 :: v_dual_cndmask_b32 v41, -v50, v50, s17
	v_dual_cndmask_b32 v45, -v51, v51, s17 :: v_dual_cndmask_b32 v48, -v52, v52, s17
	ds_bpermute_b32 v49, v123, v53
	ds_bpermute_b32 v50, v123, v54
	;; [unrolled: 1-line block ×5, first 2 shown]
	s_wait_dscnt 0x9
	v_add_f32_e32 v42, v38, v39
	s_wait_dscnt 0x8
	v_dual_add_f32 v43, v40, v43 :: v_dual_cndmask_b32 v39, -v53, v53, s17
	s_wait_dscnt 0x7
	v_add_f32_e32 v44, v41, v46
	s_wait_dscnt 0x5
	v_dual_add_f32 v45, v45, v47 :: v_dual_add_f32 v38, v48, v60
	v_dual_cndmask_b32 v40, -v54, v54, s17 :: v_dual_cndmask_b32 v41, -v55, v55, s17
	ds_bpermute_b32 v48, v123, v58
	ds_bpermute_b32 v55, v123, v65
	v_dual_cndmask_b32 v46, -v56, v56, s17 :: v_dual_cndmask_b32 v47, -v57, v57, s17
	ds_bpermute_b32 v54, v123, v62
	ds_bpermute_b32 v56, v123, v63
	ds_bpermute_b32 v53, v123, v59
	s_wait_dscnt 0x8
	v_dual_add_f32 v39, v39, v49 :: v_dual_add_f32 v40, v40, v50
	s_wait_dscnt 0x6
	v_dual_add_f32 v41, v41, v51 :: v_dual_add_f32 v50, v46, v52
	s_wait_dscnt 0x5
	v_dual_add_f32 v51, v47, v61 :: v_dual_cndmask_b32 v46, -v58, v58, s17
	v_dual_cndmask_b32 v57, -v65, v65, s17 :: v_dual_cndmask_b32 v60, -v63, v63, s17
	ds_bpermute_b32 v63, v123, v67
	ds_bpermute_b32 v65, v123, v68
	;; [unrolled: 1-line block ×3, first 2 shown]
	v_dual_cndmask_b32 v47, -v59, v59, s17 :: v_dual_cndmask_b32 v49, -v62, v62, s17
	ds_bpermute_b32 v61, v123, v64
	ds_bpermute_b32 v62, v123, v66
	s_wait_dscnt 0x8
	v_dual_add_f32 v52, v46, v48 :: v_dual_add_f32 v59, v57, v55
	v_cndmask_b32_e64 v46, -v64, v64, s17
	ds_bpermute_b32 v57, v123, v72
	ds_bpermute_b32 v64, v123, v73
	s_wait_dscnt 0x8
	v_dual_add_f32 v58, v49, v54 :: v_dual_add_f32 v60, v60, v56
	ds_bpermute_b32 v55, v123, v70
	ds_bpermute_b32 v56, v123, v71
	s_wait_dscnt 0x9
	v_dual_add_f32 v53, v47, v53 :: v_dual_cndmask_b32 v47, -v66, v66, s17
	v_dual_cndmask_b32 v48, -v67, v67, s17 :: v_dual_cndmask_b32 v49, -v68, v68, s17
	v_cndmask_b32_e64 v54, -v69, v69, s17
	ds_bpermute_b32 v126, v123, v74
	ds_bpermute_b32 v133, v123, v125
	s_wait_dscnt 0x9
	v_dual_add_f32 v67, v48, v63 :: v_dual_add_f32 v68, v49, v65
	s_wait_dscnt 0x8
	v_dual_add_f32 v69, v54, v75 :: v_dual_cndmask_b32 v48, -v72, v72, s17
	v_dual_cndmask_b32 v49, -v73, v73, s17 :: v_dual_cndmask_b32 v54, -v74, v74, s17
	s_wait_dscnt 0x6
	v_dual_add_f32 v61, v46, v61 :: v_dual_add_f32 v66, v47, v62
	v_dual_cndmask_b32 v46, -v70, v70, s17 :: v_dual_cndmask_b32 v47, -v71, v71, s17
	ds_bpermute_b32 v71, v123, v83
	ds_bpermute_b32 v72, v123, v84
	;; [unrolled: 1-line block ×4, first 2 shown]
	s_wait_dscnt 0x8
	v_dual_add_f32 v76, v48, v57 :: v_dual_add_f32 v77, v49, v64
	ds_load_b128 v[62:65], v124
	s_wait_dscnt 0x7
	v_dual_add_f32 v74, v46, v55 :: v_dual_add_f32 v75, v47, v56
	v_cndmask_b32_e64 v47, -v84, v84, s17
	ds_bpermute_b32 v48, v123, v79
	ds_bpermute_b32 v55, v123, v81
	;; [unrolled: 1-line block ×3, first 2 shown]
	s_wait_dscnt 0x9
	v_dual_add_f32 v70, v54, v126 :: v_dual_cndmask_b32 v46, -v83, v83, s17
	ds_bpermute_b32 v49, v123, v80
	v_cndmask_b32_e64 v54, -v85, v85, s17
	v_dual_cndmask_b32 v56, -v125, v125, s17 :: v_dual_cndmask_b32 v57, -v78, v78, s17
	ds_bpermute_b32 v126, v123, v128
	s_wait_dscnt 0x8
	v_dual_add_f32 v71, v46, v71 :: v_dual_add_f32 v72, v47, v72
	s_wait_dscnt 0x6
	v_dual_add_f32 v73, v54, v73 :: v_dual_add_f32 v47, v57, v134
	v_dual_add_f32 v46, v56, v133 :: v_dual_cndmask_b32 v54, -v79, v79, s17
	v_dual_cndmask_b32 v56, -v80, v80, s17 :: v_dual_cndmask_b32 v57, -v81, v81, s17
	ds_bpermute_b32 v125, v123, v127
	ds_bpermute_b32 v133, v123, v129
	v_cndmask_b32_e64 v85, -v82, v82, s17
	ds_load_b128 v[78:81], v124 offset:4096
	s_wait_dscnt 0x8
	ds_bpermute_b32 v82, v1, v62
	ds_bpermute_b32 v83, v1, v63
	ds_bpermute_b32 v138, v123, v131
	s_wait_dscnt 0x7
	v_dual_add_f32 v48, v54, v48 :: v_dual_add_f32 v49, v56, v49
	v_add_f32_e32 v54, v57, v55
	v_dual_add_f32 v55, v85, v84 :: v_dual_cndmask_b32 v56, -v127, v127, s17
	ds_bpermute_b32 v84, v1, v64
	ds_bpermute_b32 v85, v1, v65
	v_dual_cndmask_b32 v57, -v128, v128, s17 :: v_dual_cndmask_b32 v128, -v129, v129, s17
	ds_bpermute_b32 v139, v123, v132
	v_cndmask_b32_e64 v127, -v63, v63, s0
	s_wait_dscnt 0x9
	v_dual_cndmask_b32 v131, -v131, v131, s17 :: v_dual_add_f32 v57, v57, v126
	s_wait_dscnt 0x7
	v_dual_cndmask_b32 v126, -v62, v62, s0 :: v_dual_add_f32 v62, v128, v133
	ds_bpermute_b32 v140, v123, v136
	v_add_f32_e32 v56, v56, v125
	v_dual_cndmask_b32 v125, -v132, v132, s17 :: v_dual_cndmask_b32 v65, -v65, v65, s0
	s_wait_dscnt 0x4
	v_dual_cndmask_b32 v64, -v64, v64, s0 :: v_dual_add_f32 v63, v131, v138
	v_pk_add_f32 v[126:127], v[126:127], v[82:83]
	ds_bpermute_b32 v128, v1, v78
	ds_bpermute_b32 v129, v1, v79
	;; [unrolled: 1-line block ×6, first 2 shown]
	v_cndmask_b32_e64 v141, -v136, v136, s17
	s_wait_dscnt 0x8
	v_pk_add_f32 v[136:137], v[64:65], v[84:85]
	ds_load_b128 v[82:85], v124 offset:8192
	s_wait_dscnt 0x8
	v_add_f32_e32 v64, v125, v139
	v_dual_cndmask_b32 v79, -v79, v79, s0 :: v_dual_cndmask_b32 v78, -v78, v78, s0
	v_cndmask_b32_e64 v81, -v81, v81, s0
	ds_bpermute_b32 v138, v122, v136
	ds_bpermute_b32 v139, v122, v137
	s_wait_dscnt 0x9
	v_add_f32_e32 v65, v141, v140
	v_dual_cndmask_b32 v80, -v80, v80, s0 :: v_dual_cndmask_b32 v127, -v127, v127, s1
	v_dual_cndmask_b32 v126, -v126, v126, s1 :: v_dual_cndmask_b32 v137, -v137, v137, s1
	v_cndmask_b32_e64 v136, -v136, v136, s1
	s_wait_dscnt 0x7
	v_pk_add_f32 v[78:79], v[78:79], v[128:129]
	ds_load_b128 v[118:121], v124 offset:16384
	s_wait_dscnt 0x6
	v_pk_add_f32 v[80:81], v[80:81], v[132:133]
	s_wait_dscnt 0x4
	v_pk_add_f32 v[132:133], v[126:127], v[134:135]
	ds_load_b128 v[126:129], v124 offset:12288
	ds_bpermute_b32 v134, v122, v78
	s_wait_dscnt 0x5
	ds_bpermute_b32 v142, v1, v82
	ds_bpermute_b32 v143, v1, v83
	;; [unrolled: 1-line block ×5, first 2 shown]
	v_dual_cndmask_b32 v83, -v83, v83, s0 :: v_dual_cndmask_b32 v82, -v82, v82, s0
	s_wait_dscnt 0x8
	v_pk_add_f32 v[136:137], v[136:137], v[138:139]
	ds_bpermute_b32 v138, v1, v84
	ds_bpermute_b32 v139, v1, v85
	v_dual_cndmask_b32 v80, -v80, v80, s1 :: v_dual_cndmask_b32 v85, -v85, v85, s0
	ds_bpermute_b32 v146, v123, v136
	ds_bpermute_b32 v147, v123, v137
	v_cndmask_b32_e64 v84, -v84, v84, s0
	ds_bpermute_b32 v145, v123, v133
	v_dual_cndmask_b32 v136, -v136, v136, s17 :: v_dual_cndmask_b32 v79, -v79, v79, s1
	v_dual_cndmask_b32 v78, -v78, v78, s1 :: v_dual_cndmask_b32 v81, -v81, v81, s1
	v_cndmask_b32_e64 v133, -v133, v133, s17
	s_wait_dscnt 0x8
	v_pk_add_f32 v[82:83], v[82:83], v[142:143]
	ds_bpermute_b32 v144, v123, v132
	s_wait_dscnt 0x8
	v_pk_add_f32 v[78:79], v[78:79], v[134:135]
	s_wait_dscnt 0x6
	v_pk_add_f32 v[134:135], v[80:81], v[140:141]
	ds_bpermute_b32 v150, v1, v128
	ds_bpermute_b32 v151, v1, v129
	v_cndmask_b32_e64 v137, -v137, v137, s17
	ds_bpermute_b32 v140, v123, v78
	s_wait_dscnt 0x7
	v_pk_add_f32 v[84:85], v[84:85], v[138:139]
	ds_bpermute_b32 v138, v122, v82
	ds_bpermute_b32 v139, v122, v83
	;; [unrolled: 1-line block ×7, first 2 shown]
	v_cndmask_b32_e64 v132, -v132, v132, s17
	s_wait_dscnt 0xc
	v_pk_add_f32 v[80:81], v[136:137], v[146:147]
	v_dual_cndmask_b32 v137, -v79, v79, s17 :: v_dual_cndmask_b32 v136, -v78, v78, s17
	v_dual_cndmask_b32 v79, -v83, v83, s1 :: v_dual_cndmask_b32 v78, -v82, v82, s1
	v_cndmask_b32_e64 v83, -v135, v135, s17
	ds_bpermute_b32 v146, v1, v126
	ds_bpermute_b32 v147, v1, v127
	v_dual_cndmask_b32 v82, -v134, v134, s17 :: v_dual_cndmask_b32 v135, -v85, v85, s1
	v_dual_cndmask_b32 v134, -v84, v84, s1 :: v_dual_cndmask_b32 v127, -v127, v127, s0
	;; [unrolled: 1-line block ×3, first 2 shown]
	s_wait_dscnt 0x7
	v_pk_add_f32 v[138:139], v[78:79], v[138:139]
	v_cndmask_b32_e64 v128, -v128, v128, s0
	v_pk_add_f32 v[78:79], v[132:133], v[144:145]
	s_wait_dscnt 0x3
	v_pk_add_f32 v[132:133], v[134:135], v[148:149]
	v_pk_add_f32 v[84:85], v[82:83], v[142:143]
	ds_bpermute_b32 v135, v123, v139
	v_cndmask_b32_e64 v139, -v139, v139, s17
	v_pk_add_f32 v[128:129], v[128:129], v[150:151]
	ds_bpermute_b32 v144, v1, v118
	ds_bpermute_b32 v145, v1, v119
	s_wait_dscnt 0x5
	v_pk_add_f32 v[82:83], v[136:137], v[140:141]
	s_wait_dscnt 0x0
	ds_bpermute_b32 v142, v122, v128
	ds_bpermute_b32 v143, v122, v129
	v_pk_add_f32 v[126:127], v[126:127], v[146:147]
	ds_bpermute_b32 v146, v1, v120
	ds_bpermute_b32 v147, v1, v121
	s_barrier_signal -1
	s_barrier_wait -1
	ds_bpermute_b32 v140, v122, v126
	ds_bpermute_b32 v141, v122, v127
	s_wait_dscnt 0x0
	ds_store_b128 v130, v[86:89]
	ds_store_b128 v130, v[90:93] offset:4096
	ds_store_b128 v130, v[94:97] offset:8192
	;; [unrolled: 1-line block ×7, first 2 shown]
	s_wait_dscnt 0x0
	s_barrier_signal -1
	s_barrier_wait -1
	ds_load_b128 v[94:97], v124
	ds_load_b128 v[98:101], v124 offset:4096
	v_dual_cndmask_b32 v129, -v129, v129, s1 :: v_dual_cndmask_b32 v128, -v128, v128, s1
	v_dual_cndmask_b32 v91, -v119, v119, s0 :: v_dual_cndmask_b32 v90, -v118, v118, s0
	;; [unrolled: 1-line block ×3, first 2 shown]
	s_delay_alu instid0(VALU_DEP_3) | instskip(SKIP_1) | instid1(VALU_DEP_4)
	v_pk_add_f32 v[88:89], v[128:129], v[142:143]
	v_dual_cndmask_b32 v87, -v127, v127, s1 :: v_dual_cndmask_b32 v86, -v126, v126, s1
	v_pk_add_f32 v[104:105], v[90:91], v[144:145]
	s_delay_alu instid0(VALU_DEP_4)
	v_pk_add_f32 v[106:107], v[92:93], v[146:147]
	ds_bpermute_b32 v102, v123, v88
	ds_bpermute_b32 v103, v123, v89
	v_pk_add_f32 v[86:87], v[86:87], v[140:141]
	ds_bpermute_b32 v110, v122, v104
	ds_bpermute_b32 v112, v122, v106
	;; [unrolled: 1-line block ×4, first 2 shown]
	s_wait_dscnt 0x7
	ds_bpermute_b32 v114, v1, v94
	ds_bpermute_b32 v115, v1, v95
	;; [unrolled: 1-line block ×7, first 2 shown]
	v_dual_cndmask_b32 v132, -v132, v132, s17 :: v_dual_cndmask_b32 v89, -v89, v89, s17
	v_dual_cndmask_b32 v88, -v88, v88, s17 :: v_dual_cndmask_b32 v87, -v87, v87, s17
	;; [unrolled: 1-line block ×3, first 2 shown]
	v_cndmask_b32_e64 v106, -v106, v106, s1
	s_wait_dscnt 0xb
	s_delay_alu instid0(VALU_DEP_3)
	v_pk_add_f32 v[88:89], v[88:89], v[102:103]
	v_dual_cndmask_b32 v103, -v105, v105, s1 :: v_dual_cndmask_b32 v95, -v95, v95, s0
	v_dual_cndmask_b32 v94, -v94, v94, s0 :: v_dual_cndmask_b32 v102, -v104, v104, s1
	;; [unrolled: 1-line block ×3, first 2 shown]
	s_wait_dscnt 0x8
	v_pk_add_f32 v[106:107], v[106:107], v[112:113]
	s_wait_dscnt 0x5
	v_pk_add_f32 v[94:95], v[94:95], v[114:115]
	v_pk_add_f32 v[102:103], v[102:103], v[110:111]
	s_wait_dscnt 0x3
	v_pk_add_f32 v[86:87], v[86:87], v[108:109]
	s_wait_dscnt 0x1
	v_pk_add_f32 v[96:97], v[96:97], v[116:117]
	ds_bpermute_b32 v108, v123, v106
	ds_bpermute_b32 v109, v123, v107
	;; [unrolled: 1-line block ×10, first 2 shown]
	v_dual_cndmask_b32 v121, -v103, v103, s17 :: v_dual_cndmask_b32 v120, -v102, v102, s17
	v_cndmask_b32_e64 v107, -v107, v107, s17
	ds_load_b128 v[102:105], v124 offset:8192
	ds_bpermute_b32 v137, v123, v133
	ds_bpermute_b32 v112, v122, v96
	;; [unrolled: 1-line block ×3, first 2 shown]
	v_dual_cndmask_b32 v106, -v106, v106, s17 :: v_dual_cndmask_b32 v95, -v95, v95, s1
	v_dual_cndmask_b32 v127, -v97, v97, s1 :: v_dual_cndmask_b32 v99, -v99, v99, s0
	;; [unrolled: 1-line block ×4, first 2 shown]
	ds_bpermute_b32 v134, v123, v138
	v_dual_cndmask_b32 v138, -v138, v138, s17 :: v_dual_cndmask_b32 v133, -v133, v133, s17
	s_wait_dscnt 0xa
	v_pk_add_f32 v[98:99], v[98:99], v[114:115]
	s_wait_dscnt 0x8
	v_pk_add_f32 v[100:101], v[100:101], v[116:117]
	;; [unrolled: 2-line block ×3, first 2 shown]
	v_cndmask_b32_e64 v126, -v96, v96, s1
	v_pk_add_f32 v[96:97], v[106:107], v[108:109]
	ds_load_b128 v[106:109], v124 offset:12288
	s_wait_dscnt 0x5
	ds_bpermute_b32 v128, v1, v104
	ds_bpermute_b32 v129, v1, v105
	s_wait_dscnt 0x6
	v_pk_add_f32 v[92:93], v[132:133], v[136:137]
	ds_bpermute_b32 v114, v122, v98
	ds_bpermute_b32 v115, v122, v99
	;; [unrolled: 1-line block ×4, first 2 shown]
	v_cndmask_b32_e64 v133, -v111, v111, s17
	s_wait_dscnt 0x8
	v_pk_add_f32 v[112:113], v[126:127], v[112:113]
	ds_bpermute_b32 v126, v1, v102
	ds_bpermute_b32 v127, v1, v103
	v_pk_add_f32 v[94:95], v[120:121], v[118:119]
	v_dual_cndmask_b32 v105, -v105, v105, s0 :: v_dual_cndmask_b32 v104, -v104, v104, s0
	ds_bpermute_b32 v120, v123, v112
	ds_bpermute_b32 v121, v123, v113
	v_dual_cndmask_b32 v113, -v113, v113, s17 :: v_dual_cndmask_b32 v99, -v99, v99, s1
	v_dual_cndmask_b32 v98, -v98, v98, s1 :: v_dual_cndmask_b32 v101, -v101, v101, s1
	;; [unrolled: 1-line block ×4, first 2 shown]
	s_wait_dscnt 0x8
	v_pk_add_f32 v[104:105], v[104:105], v[128:129]
	s_wait_dscnt 0x6
	v_pk_add_f32 v[98:99], v[98:99], v[114:115]
	v_cndmask_b32_e64 v112, -v112, v112, s17
	s_wait_dscnt 0x4
	v_pk_add_f32 v[114:115], v[100:101], v[116:117]
	v_pk_add_f32 v[90:91], v[138:139], v[134:135]
	ds_bpermute_b32 v128, v122, v104
	s_wait_dscnt 0x3
	v_pk_add_f32 v[102:103], v[102:103], v[126:127]
	ds_bpermute_b32 v129, v122, v105
	ds_bpermute_b32 v118, v123, v110
	;; [unrolled: 1-line block ×9, first 2 shown]
	s_wait_dscnt 0xa
	v_pk_add_f32 v[100:101], v[112:113], v[120:121]
	ds_bpermute_b32 v136, v1, v106
	ds_load_b128 v[110:113], v124 offset:16384
	ds_bpermute_b32 v137, v1, v107
	ds_bpermute_b32 v138, v1, v108
	;; [unrolled: 1-line block ×3, first 2 shown]
	v_dual_cndmask_b32 v105, -v105, v105, s1 :: v_dual_cndmask_b32 v104, -v104, v104, s1
	v_cndmask_b32_e64 v121, -v99, v99, s17
	v_dual_cndmask_b32 v103, -v103, v103, s1 :: v_dual_cndmask_b32 v102, -v102, v102, s1
	v_dual_cndmask_b32 v115, -v115, v115, s17 :: v_dual_cndmask_b32 v114, -v114, v114, s17
	;; [unrolled: 1-line block ×3, first 2 shown]
	s_wait_dscnt 0xd
	v_pk_add_f32 v[128:129], v[104:105], v[128:129]
	v_dual_cndmask_b32 v106, -v106, v106, s0 :: v_dual_cndmask_b32 v109, -v109, v109, s0
	s_wait_dscnt 0x8
	v_pk_add_f32 v[126:127], v[102:103], v[126:127]
	v_pk_add_f32 v[98:99], v[132:133], v[118:119]
	s_wait_dscnt 0x6
	v_pk_add_f32 v[104:105], v[114:115], v[134:135]
	s_wait_dscnt 0x5
	v_pk_add_f32 v[102:103], v[120:121], v[116:117]
	ds_bpermute_b32 v120, v123, v128
	ds_bpermute_b32 v121, v123, v129
	v_cndmask_b32_e64 v108, -v108, v108, s0
	ds_load_b128 v[114:117], v124 offset:20480
	s_wait_dscnt 0x6
	ds_bpermute_b32 v132, v1, v112
	ds_bpermute_b32 v133, v1, v113
	s_wait_dscnt 0x7
	v_pk_add_f32 v[106:107], v[106:107], v[136:137]
	ds_bpermute_b32 v136, v1, v110
	ds_bpermute_b32 v137, v1, v111
	;; [unrolled: 1-line block ×3, first 2 shown]
	s_wait_dscnt 0x8
	v_pk_add_f32 v[134:135], v[108:109], v[138:139]
	ds_bpermute_b32 v119, v123, v127
	v_dual_cndmask_b32 v109, -v129, v129, s17 :: v_dual_cndmask_b32 v108, -v128, v128, s17
	v_cndmask_b32_e64 v127, -v127, v127, s17
	ds_bpermute_b32 v140, v122, v134
	ds_bpermute_b32 v141, v122, v135
	v_dual_cndmask_b32 v126, -v126, v126, s17 :: v_dual_cndmask_b32 v113, -v113, v113, s0
	v_dual_cndmask_b32 v112, -v112, v112, s0 :: v_dual_cndmask_b32 v111, -v111, v111, s0
	v_cndmask_b32_e64 v110, -v110, v110, s0
	ds_bpermute_b32 v138, v122, v106
	ds_bpermute_b32 v139, v122, v107
	s_wait_dscnt 0xb
	v_pk_add_f32 v[108:109], v[108:109], v[120:121]
	v_cndmask_b32_e64 v121, -v107, v107, s1
	s_wait_dscnt 0x8
	v_pk_add_f32 v[112:113], v[112:113], v[132:133]
	v_dual_cndmask_b32 v120, -v106, v106, s1 :: v_dual_cndmask_b32 v129, -v135, v135, s1
	s_wait_dscnt 0x6
	v_pk_add_f32 v[110:111], v[110:111], v[136:137]
	v_cndmask_b32_e64 v128, -v134, v134, s1
	ds_bpermute_b32 v132, v122, v112
	ds_bpermute_b32 v133, v122, v113
	s_wait_dscnt 0x6
	v_pk_add_f32 v[106:107], v[126:127], v[118:119]
	ds_bpermute_b32 v118, v122, v110
	ds_bpermute_b32 v119, v122, v111
	;; [unrolled: 1-line block ×6, first 2 shown]
	v_cndmask_b32_e64 v113, -v113, v113, s1
	s_wait_dscnt 0xa
	v_pk_add_f32 v[126:127], v[128:129], v[140:141]
	v_cndmask_b32_e64 v111, -v111, v111, s1
	s_wait_dscnt 0x8
	v_pk_add_f32 v[128:129], v[120:121], v[138:139]
	v_dual_cndmask_b32 v112, -v112, v112, s1 :: v_dual_cndmask_b32 v110, -v110, v110, s1
	ds_bpermute_b32 v140, v123, v126
	ds_bpermute_b32 v141, v123, v127
	v_dual_cndmask_b32 v127, -v127, v127, s17 :: v_dual_cndmask_b32 v143, -v129, v129, s17
	v_cndmask_b32_e64 v126, -v126, v126, s17
	ds_bpermute_b32 v138, v123, v128
	s_wait_dscnt 0x9
	v_pk_add_f32 v[132:133], v[112:113], v[132:133]
	v_dual_cndmask_b32 v113, -v115, v115, s0 :: v_dual_cndmask_b32 v115, -v117, v117, s0
	v_dual_cndmask_b32 v112, -v114, v114, s0 :: v_dual_cndmask_b32 v114, -v116, v116, s0
	s_wait_dscnt 0x7
	v_pk_add_f32 v[110:111], v[110:111], v[118:119]
	ds_load_b128 v[118:121], v124 offset:24576
	ds_bpermute_b32 v139, v123, v129
	s_wait_dscnt 0x7
	v_pk_add_f32 v[116:117], v[112:113], v[134:135]
	s_wait_dscnt 0x5
	v_pk_add_f32 v[114:115], v[114:115], v[136:137]
	v_cndmask_b32_e64 v142, -v128, v128, s17
	ds_bpermute_b32 v136, v123, v132
	ds_bpermute_b32 v137, v123, v133
	;; [unrolled: 1-line block ×6, first 2 shown]
	s_wait_dscnt 0x9
	v_pk_add_f32 v[112:113], v[126:127], v[140:141]
	ds_load_b128 v[126:129], v124 offset:28672
	v_dual_cndmask_b32 v133, -v133, v133, s17 :: v_dual_cndmask_b32 v116, -v116, v116, s1
	v_dual_cndmask_b32 v117, -v117, v117, s1 :: v_dual_cndmask_b32 v115, -v115, v115, s1
	v_dual_cndmask_b32 v114, -v114, v114, s1 :: v_dual_cndmask_b32 v132, -v132, v132, s17
	ds_bpermute_b32 v134, v123, v110
	s_wait_dscnt 0x9
	ds_bpermute_b32 v150, v1, v120
	ds_bpermute_b32 v151, v1, v121
	ds_bpermute_b32 v135, v123, v111
	v_cndmask_b32_e64 v141, -v111, v111, s17
	ds_bpermute_b32 v148, v1, v118
	ds_bpermute_b32 v149, v1, v119
	v_dual_cndmask_b32 v140, -v110, v110, s17 :: v_dual_cndmask_b32 v119, -v119, v119, s0
	s_wait_dscnt 0x9
	v_pk_add_f32 v[144:145], v[116:117], v[144:145]
	v_pk_add_f32 v[110:111], v[142:143], v[138:139]
	s_wait_dscnt 0x7
	v_pk_add_f32 v[138:139], v[114:115], v[146:147]
	v_pk_add_f32 v[116:117], v[132:133], v[136:137]
	s_wait_dscnt 0x6
	ds_bpermute_b32 v146, v1, v128
	ds_bpermute_b32 v147, v1, v129
	;; [unrolled: 1-line block ×4, first 2 shown]
	v_dual_cndmask_b32 v118, -v118, v118, s0 :: v_dual_cndmask_b32 v121, -v121, v121, s0
	v_dual_cndmask_b32 v120, -v120, v120, s0 :: v_dual_cndmask_b32 v137, -v145, v145, s17
	v_cndmask_b32_e64 v136, -v144, v144, s17
	ds_bpermute_b32 v144, v1, v126
	ds_bpermute_b32 v145, v1, v127
	s_wait_dscnt 0x9
	v_pk_add_f32 v[120:121], v[120:121], v[150:151]
	s_wait_dscnt 0x0
	s_barrier_signal -1
	s_barrier_wait -1
	ds_store_b128 v130, v[6:9]
	ds_store_b128 v130, v[2:5] offset:4096
	ds_store_b128 v130, v[10:13] offset:8192
	;; [unrolled: 1-line block ×7, first 2 shown]
	s_wait_dscnt 0x0
	s_barrier_signal -1
	s_barrier_wait -1
	ds_load_b128 v[6:9], v124
	ds_load_b128 v[14:17], v124 offset:4096
	ds_bpermute_b32 v143, v122, v121
	v_dual_cndmask_b32 v121, -v121, v121, s1 :: v_dual_cndmask_b32 v128, -v128, v128, s0
	v_dual_cndmask_b32 v129, -v129, v129, s0 :: v_dual_cndmask_b32 v3, -v127, v127, s0
	v_pk_add_f32 v[118:119], v[118:119], v[148:149]
	ds_bpermute_b32 v142, v122, v120
	v_dual_cndmask_b32 v2, -v126, v126, s0 :: v_dual_cndmask_b32 v120, -v120, v120, s1
	v_pk_add_f32 v[10:11], v[128:129], v[146:147]
	v_pk_add_f32 v[114:115], v[140:141], v[134:135]
	ds_bpermute_b32 v140, v122, v118
	ds_bpermute_b32 v141, v122, v119
	v_pk_add_f32 v[12:13], v[2:3], v[144:145]
	ds_bpermute_b32 v22, v122, v10
	ds_bpermute_b32 v23, v122, v11
	;; [unrolled: 1-line block ×3, first 2 shown]
	v_dual_cndmask_b32 v138, -v138, v138, s17 :: v_dual_cndmask_b32 v119, -v119, v119, s1
	ds_bpermute_b32 v24, v122, v12
	ds_bpermute_b32 v25, v122, v13
	s_wait_dscnt 0xa
	ds_bpermute_b32 v30, v1, v6
	ds_bpermute_b32 v31, v1, v7
	v_cndmask_b32_e64 v118, -v118, v118, s1
	ds_bpermute_b32 v32, v1, v8
	ds_bpermute_b32 v33, v1, v9
	s_wait_dscnt 0xb
	v_pk_add_f32 v[18:19], v[120:121], v[142:143]
	v_dual_cndmask_b32 v11, -v11, v11, s1 :: v_dual_cndmask_b32 v10, -v10, v10, s1
	v_dual_cndmask_b32 v13, -v13, v13, s1 :: v_dual_cndmask_b32 v12, -v12, v12, s1
	ds_bpermute_b32 v28, v123, v18
	s_wait_dscnt 0xa
	v_pk_add_f32 v[20:21], v[118:119], v[140:141]
	v_dual_cndmask_b32 v18, -v18, v18, s17 :: v_dual_cndmask_b32 v7, -v7, v7, s0
	s_wait_dscnt 0x8
	v_pk_add_f32 v[10:11], v[10:11], v[22:23]
	v_dual_cndmask_b32 v6, -v6, v6, s0 :: v_dual_cndmask_b32 v9, -v9, v9, s0
	ds_bpermute_b32 v26, v123, v20
	ds_bpermute_b32 v27, v123, v21
	;; [unrolled: 1-line block ×3, first 2 shown]
	s_wait_dscnt 0x8
	v_pk_add_f32 v[22:23], v[12:13], v[24:25]
	ds_bpermute_b32 v24, v123, v10
	ds_bpermute_b32 v25, v123, v11
	s_wait_dscnt 0x8
	v_pk_add_f32 v[6:7], v[6:7], v[30:31]
	v_dual_cndmask_b32 v8, -v8, v8, s0 :: v_dual_cndmask_b32 v119, -v11, v11, s17
	ds_bpermute_b32 v135, v123, v139
	v_cndmask_b32_e64 v139, -v139, v139, s17
	ds_bpermute_b32 v120, v122, v6
	ds_bpermute_b32 v121, v122, v7
	v_pk_add_f32 v[2:3], v[136:137], v[132:133]
	s_wait_dscnt 0x9
	v_pk_add_f32 v[32:33], v[8:9], v[32:33]
	ds_bpermute_b32 v126, v1, v16
	ds_bpermute_b32 v127, v1, v17
	;; [unrolled: 1-line block ×4, first 2 shown]
	v_dual_cndmask_b32 v21, -v21, v21, s17 :: v_dual_cndmask_b32 v20, -v20, v20, s17
	v_cndmask_b32_e64 v19, -v19, v19, s17
	ds_bpermute_b32 v30, v123, v22
	ds_bpermute_b32 v31, v123, v23
	;; [unrolled: 1-line block ×4, first 2 shown]
	v_dual_cndmask_b32 v118, -v10, v10, s17 :: v_dual_cndmask_b32 v23, -v23, v23, s17
	s_wait_dscnt 0xd
	v_pk_add_f32 v[12:13], v[18:19], v[28:29]
	v_pk_add_f32 v[10:11], v[20:21], v[26:27]
	v_cndmask_b32_e64 v22, -v22, v22, s17
	s_wait_dscnt 0xb
	v_pk_add_f32 v[8:9], v[118:119], v[24:25]
	v_cndmask_b32_e64 v25, -v7, v7, s1
	ds_load_b128 v[18:21], v124 offset:8192
	v_dual_cndmask_b32 v24, -v6, v6, s1 :: v_dual_cndmask_b32 v7, -v17, v17, s0
	v_dual_cndmask_b32 v6, -v16, v16, s0 :: v_dual_cndmask_b32 v17, -v33, v33, s1
	;; [unrolled: 1-line block ×3, first 2 shown]
	s_wait_dscnt 0x9
	s_delay_alu instid0(VALU_DEP_3)
	v_pk_add_f32 v[28:29], v[24:25], v[120:121]
	v_cndmask_b32_e64 v14, -v14, v14, s0
	s_wait_dscnt 0x7
	v_pk_add_f32 v[26:27], v[6:7], v[126:127]
	s_wait_dscnt 0x3
	v_pk_add_f32 v[6:7], v[22:23], v[30:31]
	ds_load_b128 v[22:25], v124 offset:12288
	ds_bpermute_b32 v33, v123, v29
	v_cndmask_b32_e64 v29, -v29, v29, s17
	v_pk_add_f32 v[14:15], v[14:15], v[132:133]
	s_wait_dscnt 0x3
	v_pk_add_f32 v[16:17], v[16:17], v[128:129]
	ds_bpermute_b32 v30, v122, v26
	ds_bpermute_b32 v31, v122, v27
	;; [unrolled: 1-line block ×6, first 2 shown]
	s_wait_dscnt 0x8
	ds_bpermute_b32 v126, v1, v18
	ds_bpermute_b32 v127, v1, v19
	;; [unrolled: 1-line block ×5, first 2 shown]
	v_dual_cndmask_b32 v28, -v28, v28, s17 :: v_dual_cndmask_b32 v27, -v27, v27, s1
	v_dual_cndmask_b32 v26, -v26, v26, s1 :: v_dual_cndmask_b32 v17, -v17, v17, s17
	v_dual_cndmask_b32 v16, -v16, v16, s17 :: v_dual_cndmask_b32 v15, -v15, v15, s1
	v_dual_cndmask_b32 v14, -v14, v14, s1 :: v_dual_cndmask_b32 v19, -v19, v19, s0
	v_dual_cndmask_b32 v18, -v18, v18, s0 :: v_dual_cndmask_b32 v21, -v21, v21, s0
	s_wait_dscnt 0x9
	v_pk_add_f32 v[26:27], v[26:27], v[30:31]
	v_cndmask_b32_e64 v20, -v20, v20, s0
	ds_bpermute_b32 v136, v1, v24
	s_wait_dscnt 0x7
	v_pk_add_f32 v[30:31], v[14:15], v[120:121]
	ds_bpermute_b32 v137, v1, v25
	ds_bpermute_b32 v120, v123, v26
	;; [unrolled: 1-line block ×3, first 2 shown]
	s_wait_dscnt 0x7
	v_pk_add_f32 v[18:19], v[18:19], v[126:127]
	s_wait_dscnt 0x6
	v_pk_add_f32 v[16:17], v[16:17], v[118:119]
	ds_bpermute_b32 v118, v123, v30
	ds_bpermute_b32 v119, v123, v31
	s_wait_dscnt 0x6
	v_pk_add_f32 v[126:127], v[20:21], v[128:129]
	ds_bpermute_b32 v128, v122, v18
	ds_bpermute_b32 v129, v122, v19
	v_pk_add_f32 v[4:5], v[138:139], v[134:135]
	ds_bpermute_b32 v134, v1, v22
	ds_bpermute_b32 v135, v1, v23
	v_dual_cndmask_b32 v21, -v27, v27, s17 :: v_dual_cndmask_b32 v20, -v26, v26, s17
	v_cndmask_b32_e64 v31, -v31, v31, s17
	v_pk_add_f32 v[14:15], v[28:29], v[32:33]
	ds_load_b128 v[26:29], v124 offset:16384
	v_dual_cndmask_b32 v30, -v30, v30, s17 :: v_dual_cndmask_b32 v33, -v19, v19, s1
	v_dual_cndmask_b32 v23, -v23, v23, s0 :: v_dual_cndmask_b32 v25, -v25, v25, s0
	v_cndmask_b32_e64 v24, -v24, v24, s0
	ds_bpermute_b32 v132, v122, v126
	ds_bpermute_b32 v133, v122, v127
	s_wait_dscnt 0x9
	v_pk_add_f32 v[20:21], v[20:21], v[120:121]
	v_cndmask_b32_e64 v120, -v126, v126, s1
	v_cndmask_b32_e64 v32, -v18, v18, s1
	s_wait_dscnt 0x7
	v_pk_add_f32 v[18:19], v[30:31], v[118:119]
	v_pk_add_f32 v[30:31], v[24:25], v[136:137]
	v_dual_cndmask_b32 v121, -v127, v127, s1 :: v_dual_cndmask_b32 v22, -v22, v22, s0
	s_wait_dscnt 0x5
	v_pk_add_f32 v[32:33], v[32:33], v[128:129]
	ds_bpermute_b32 v128, v122, v30
	ds_bpermute_b32 v129, v122, v31
	s_wait_dscnt 0x5
	v_pk_add_f32 v[126:127], v[22:23], v[134:135]
	ds_load_b128 v[22:25], v124 offset:20480
	s_wait_dscnt 0x5
	ds_bpermute_b32 v136, v1, v28
	ds_bpermute_b32 v137, v1, v29
	v_dual_cndmask_b32 v31, -v31, v31, s1 :: v_dual_cndmask_b32 v30, -v30, v30, s1
	v_dual_cndmask_b32 v29, -v29, v29, s0 :: v_dual_cndmask_b32 v28, -v28, v28, s0
	s_wait_dscnt 0x5
	v_pk_add_f32 v[118:119], v[120:121], v[132:133]
	ds_bpermute_b32 v120, v122, v126
	ds_bpermute_b32 v121, v122, v127
	;; [unrolled: 1-line block ×8, first 2 shown]
	v_dual_cndmask_b32 v127, -v127, v127, s1 :: v_dual_cndmask_b32 v126, -v126, v126, s1
	s_wait_dscnt 0xb
	v_pk_add_f32 v[30:31], v[30:31], v[128:129]
	v_dual_cndmask_b32 v27, -v27, v27, s0 :: v_dual_cndmask_b32 v26, -v26, v26, s0
	v_cndmask_b32_e64 v33, -v33, v33, s17
	s_wait_dscnt 0x8
	v_pk_add_f32 v[128:129], v[28:29], v[136:137]
	ds_bpermute_b32 v136, v123, v30
	ds_bpermute_b32 v137, v123, v31
	v_dual_cndmask_b32 v119, -v119, v119, s17 :: v_dual_cndmask_b32 v118, -v118, v118, s17
	v_dual_cndmask_b32 v31, -v31, v31, s17 :: v_dual_cndmask_b32 v30, -v30, v30, s17
	v_cndmask_b32_e64 v149, -v129, v129, s1
	s_wait_dscnt 0x8
	v_pk_add_f32 v[126:127], v[126:127], v[120:121]
	s_wait_dscnt 0x6
	v_pk_add_f32 v[26:27], v[26:27], v[132:133]
	v_cndmask_b32_e64 v32, -v32, v32, s17
	ds_bpermute_b32 v142, v122, v128
	ds_bpermute_b32 v143, v122, v129
	;; [unrolled: 1-line block ×5, first 2 shown]
	v_cndmask_b32_e64 v126, -v126, v126, s17
	ds_bpermute_b32 v133, v123, v127
	s_wait_dscnt 0x8
	v_pk_add_f32 v[120:121], v[118:119], v[138:139]
	v_cndmask_b32_e64 v127, -v127, v127, s17
	v_dual_cndmask_b32 v139, -v27, v27, s1 :: v_dual_cndmask_b32 v138, -v26, v26, s1
	ds_bpermute_b32 v144, v1, v22
	ds_bpermute_b32 v145, v1, v23
	ds_load_b128 v[26:29], v124 offset:24576
	v_dual_cndmask_b32 v148, -v128, v128, s1 :: v_dual_cndmask_b32 v23, -v23, v23, s0
	v_pk_add_f32 v[118:119], v[32:33], v[134:135]
	s_wait_dscnt 0x9
	v_pk_add_f32 v[128:129], v[30:31], v[136:137]
	ds_load_b128 v[30:33], v124 offset:28672
	ds_bpermute_b32 v146, v1, v24
	ds_bpermute_b32 v147, v1, v25
	v_dual_cndmask_b32 v25, -v25, v25, s0 :: v_dual_cndmask_b32 v24, -v24, v24, s0
	s_wait_dscnt 0x0
	v_pk_add_f32 v[134:135], v[138:139], v[140:141]
	v_cndmask_b32_e64 v22, -v22, v22, s0
	v_pk_add_f32 v[126:127], v[126:127], v[132:133]
	v_pk_add_f32 v[132:133], v[148:149], v[142:143]
	s_barrier_signal -1
	ds_bpermute_b32 v136, v123, v134
	ds_bpermute_b32 v137, v123, v135
	s_barrier_wait -1
	v_pk_add_f32 v[22:23], v[22:23], v[144:145]
	ds_bpermute_b32 v140, v1, v26
	ds_bpermute_b32 v142, v1, v28
	ds_bpermute_b32 v143, v1, v29
	ds_bpermute_b32 v141, v1, v27
	v_cndmask_b32_e64 v145, -v135, v135, s17
	ds_bpermute_b32 v148, v1, v30
	ds_bpermute_b32 v149, v1, v31
	;; [unrolled: 1-line block ×4, first 2 shown]
	v_cndmask_b32_e64 v144, -v134, v134, s17
	ds_bpermute_b32 v134, v122, v22
	ds_bpermute_b32 v135, v122, v23
	v_pk_add_f32 v[24:25], v[24:25], v[146:147]
	v_dual_cndmask_b32 v27, -v27, v27, s0 :: v_dual_cndmask_b32 v29, -v29, v29, s0
	v_dual_cndmask_b32 v28, -v28, v28, s0 :: v_dual_cndmask_b32 v26, -v26, v26, s0
	ds_bpermute_b32 v146, v122, v24
	v_dual_cndmask_b32 v24, -v24, v24, s1 :: v_dual_cndmask_b32 v31, -v31, v31, s0
	v_dual_cndmask_b32 v30, -v30, v30, s0 :: v_dual_cndmask_b32 v33, -v33, v33, s0
	v_cndmask_b32_e64 v32, -v32, v32, s0
	ds_bpermute_b32 v139, v123, v133
	ds_bpermute_b32 v147, v122, v25
	v_dual_cndmask_b32 v23, -v23, v23, s1 :: v_dual_cndmask_b32 v22, -v22, v22, s1
	v_cndmask_b32_e64 v25, -v25, v25, s1
	s_wait_dscnt 0xa
	v_pk_add_f32 v[28:29], v[28:29], v[142:143]
	s_wait_dscnt 0x9
	v_pk_add_f32 v[26:27], v[26:27], v[140:141]
	;; [unrolled: 2-line block ×3, first 2 shown]
	v_cndmask_b32_e64 v133, -v133, v133, s17
	s_wait_dscnt 0x5
	v_pk_add_f32 v[32:33], v[32:33], v[150:151]
	s_wait_dscnt 0x3
	v_pk_add_f32 v[22:23], v[22:23], v[134:135]
	ds_bpermute_b32 v140, v122, v26
	ds_bpermute_b32 v141, v122, v27
	ds_bpermute_b32 v134, v122, v28
	ds_bpermute_b32 v135, v122, v29
	ds_bpermute_b32 v142, v122, v30
	ds_bpermute_b32 v143, v122, v31
	ds_bpermute_b32 v148, v122, v32
	ds_bpermute_b32 v149, v122, v33
	ds_bpermute_b32 v138, v123, v132
	v_dual_cndmask_b32 v132, -v132, v132, s17 :: v_dual_cndmask_b32 v27, -v27, v27, s1
	s_wait_dscnt 0x9
	v_pk_add_f32 v[24:25], v[24:25], v[146:147]
	v_dual_cndmask_b32 v26, -v26, v26, s1 :: v_dual_cndmask_b32 v29, -v29, v29, s1
	v_dual_cndmask_b32 v28, -v28, v28, s1 :: v_dual_cndmask_b32 v31, -v31, v31, s1
	;; [unrolled: 1-line block ×3, first 2 shown]
	v_cndmask_b32_e64 v32, -v32, v32, s1
	ds_bpermute_b32 v150, v123, v24
	ds_bpermute_b32 v151, v123, v25
	s_wait_dscnt 0x9
	v_pk_add_f32 v[26:27], v[26:27], v[140:141]
	v_cndmask_b32_e64 v25, -v25, v25, s17
	s_wait_dscnt 0x7
	v_pk_add_f32 v[28:29], v[28:29], v[134:135]
	ds_bpermute_b32 v146, v123, v22
	s_wait_dscnt 0x6
	v_pk_add_f32 v[30:31], v[30:31], v[142:143]
	ds_bpermute_b32 v147, v123, v23
	;; [unrolled: 3-line block ×3, first 2 shown]
	ds_bpermute_b32 v141, v123, v27
	ds_bpermute_b32 v142, v123, v28
	;; [unrolled: 1-line block ×7, first 2 shown]
	v_dual_cndmask_b32 v24, -v24, v24, s17 :: v_dual_cndmask_b32 v23, -v23, v23, s17
	s_wait_dscnt 0xc
	v_pk_add_f32 v[134:135], v[132:133], v[138:139]
	v_dual_cndmask_b32 v22, -v22, v22, s17 :: v_dual_cndmask_b32 v33, -v33, v33, s17
	v_cndmask_b32_e64 v32, -v32, v32, s17
	s_wait_dscnt 0xa
	v_pk_add_f32 v[138:139], v[24:25], v[150:151]
	v_dual_cndmask_b32 v25, -v27, v27, s17 :: v_dual_cndmask_b32 v24, -v26, v26, s17
	v_dual_cndmask_b32 v27, -v29, v29, s17 :: v_dual_cndmask_b32 v26, -v28, v28, s17
	;; [unrolled: 1-line block ×3, first 2 shown]
	v_pk_add_f32 v[132:133], v[144:145], v[136:137]
	s_wait_dscnt 0x8
	v_pk_add_f32 v[136:137], v[22:23], v[146:147]
	s_wait_dscnt 0x4
	v_pk_add_f32 v[142:143], v[26:27], v[142:143]
	v_pk_add_f32 v[140:141], v[24:25], v[140:141]
	s_wait_dscnt 0x0
	v_pk_add_f32 v[146:147], v[32:33], v[148:149]
	v_pk_add_f32 v[144:145], v[28:29], v[122:123]
	ds_store_b128 v124, v[34:37]
	ds_store_b128 v124, v[42:45] offset:4096
	ds_store_b128 v124, v[38:41] offset:8192
	ds_store_b128 v124, v[50:53] offset:12288
	ds_store_b128 v124, v[58:61] offset:16384
	ds_store_b128 v124, v[66:69] offset:20480
	ds_store_b128 v124, v[74:77] offset:24576
	ds_store_b128 v124, v[70:73] offset:28672
	s_wait_dscnt 0x0
	s_barrier_signal -1
	s_barrier_wait -1
	ds_load_b128 v[38:41], v130
	ds_load_b128 v[22:25], v130 offset:4096
	ds_load_b128 v[50:53], v130 offset:8192
	ds_load_b128 v[30:33], v130 offset:12288
	ds_load_b128 v[42:45], v130 offset:16384
	ds_load_b128 v[26:29], v130 offset:20480
	ds_load_b128 v[58:61], v130 offset:24576
	ds_load_b128 v[34:37], v130 offset:28672
	s_wait_dscnt 0x0
	s_barrier_signal -1
	s_barrier_wait -1
	ds_store_b128 v124, v[78:81]
	ds_store_b128 v124, v[82:85] offset:4096
	ds_store_b128 v124, v[90:93] offset:8192
	ds_store_b128 v124, v[86:89] offset:12288
	ds_store_b128 v124, v[94:97] offset:16384
	ds_store_b128 v124, v[46:49] offset:20480
	ds_store_b128 v124, v[54:57] offset:24576
	ds_store_b128 v124, v[62:65] offset:28672
	s_wait_dscnt 0x0
	s_barrier_signal -1
	s_barrier_wait -1
	ds_load_b128 v[78:81], v130
	ds_load_b128 v[66:69], v130 offset:4096
	ds_load_b128 v[82:85], v130 offset:8192
	ds_load_b128 v[74:77], v130 offset:12288
	ds_load_b128 v[62:65], v130 offset:16384
	ds_load_b128 v[46:49], v130 offset:20480
	ds_load_b128 v[70:73], v130 offset:24576
	ds_load_b128 v[54:57], v130 offset:28672
	s_wait_dscnt 0x0
	s_barrier_signal -1
	s_barrier_wait -1
	;; [unrolled: 22-line block ×3, first 2 shown]
	ds_store_b128 v124, v[14:17]
	ds_store_b128 v124, v[18:21] offset:4096
	ds_store_b128 v124, v[118:121] offset:8192
	;; [unrolled: 1-line block ×7, first 2 shown]
	s_wait_dscnt 0x0
	s_barrier_signal -1
	s_barrier_wait -1
	ds_load_b128 v[110:113], v130
	ds_load_b128 v[118:121], v130 offset:8192
	ds_load_b128 v[14:17], v130 offset:16384
	ds_load_b128 v[18:21], v130 offset:24576
	ds_load_b128 v[122:125], v130 offset:4096
	ds_load_b128 v[126:129], v130 offset:12288
	ds_load_b128 v[106:109], v130 offset:20480
	ds_load_b128 v[114:117], v130 offset:28672
	v_pk_add_f32 v[180:181], v[40:41], v[52:53]
	v_pk_add_f32 v[178:179], v[38:39], v[50:51]
	;; [unrolled: 1-line block ×16, first 2 shown]
	s_wait_dscnt 0x6
	v_pk_add_f32 v[204:205], v[112:113], v[120:121]
	v_pk_add_f32 v[202:203], v[110:111], v[118:119]
	s_wait_dscnt 0x4
	v_pk_add_f32 v[212:213], v[16:17], v[20:21]
	v_pk_add_f32 v[210:211], v[14:15], v[18:19]
	;; [unrolled: 1-line block ×10, first 2 shown]
	s_wait_dscnt 0x2
	v_pk_add_f32 v[236:237], v[124:125], v[128:129]
	v_pk_add_f32 v[234:235], v[122:123], v[126:127]
	s_wait_dscnt 0x0
	v_pk_add_f32 v[240:241], v[108:109], v[116:117]
	v_pk_add_f32 v[238:239], v[106:107], v[114:115]
	;; [unrolled: 1-line block ×26, first 2 shown]
	s_lshl_b64 s[0:1], s[18:19], 1
	s_delay_alu instid0(SALU_CYCLE_1)
	s_add_nc_u64 s[0:1], s[22:23], s[0:1]
	s_and_saveexec_b32 s17, s16
	s_cbranch_execz .LBB38_34
; %bb.33:
	s_mov_b32 s18, s20
	s_mov_b32 s19, s20
	v_mov_b64_e32 v[248:249], s[20:21]
	v_mov_b64_e32 v[244:245], s[18:19]
	v_pk_add_f32 v[242:243], v[130:131], v[134:135]
	v_pk_add_f32 v[246:247], v[138:139], v[142:143]
	;; [unrolled: 1-line block ×4, first 2 shown]
	s_delay_alu instid0(VALU_DEP_3) | instskip(SKIP_1) | instid1(VALU_DEP_4)
	v_pk_mul_f32 v[246:247], v[244:245], v[246:247]
	v_pk_mul_f32 v[242:243], v[244:245], v[242:243]
	;; [unrolled: 1-line block ×3, first 2 shown]
	s_delay_alu instid0(VALU_DEP_4) | instskip(NEXT) | instid1(VALU_DEP_4)
	v_pk_mul_f32 v[248:249], v[248:249], v[252:253]
	v_cvt_pk_bf16_f32 v245, v246, v247
	s_delay_alu instid0(VALU_DEP_4) | instskip(NEXT) | instid1(VALU_DEP_4)
	v_cvt_pk_bf16_f32 v243, v242, v243
	v_cvt_pk_bf16_f32 v244, v250, v251
	s_delay_alu instid0(VALU_DEP_4)
	v_cvt_pk_bf16_f32 v242, v248, v249
	global_store_b128 v0, v[242:245], s[0:1] scale_offset
.LBB38_34:
	s_wait_xcnt 0x0
	s_or_b32 exec_lo, exec_lo, s17
	v_dual_sub_f32 v41, v41, v53 :: v_dual_sub_f32 v40, v40, v52
	v_dual_sub_f32 v39, v39, v51 :: v_dual_sub_f32 v38, v38, v50
	v_dual_sub_f32 v51, v45, v61 :: v_dual_sub_f32 v50, v44, v60
	v_dual_sub_f32 v45, v43, v59 :: v_dual_sub_f32 v44, v42, v58
	v_dual_sub_f32 v43, v25, v33 :: v_dual_sub_f32 v42, v24, v32
	v_dual_sub_f32 v33, v23, v31 :: v_dual_sub_f32 v32, v22, v30
	v_dual_sub_f32 v59, v29, v37 :: v_dual_sub_f32 v58, v28, v36
	v_dual_sub_f32 v53, v27, v35 :: v_dual_sub_f32 v52, v26, v34
	v_dual_sub_f32 v245, v81, v85 :: v_dual_sub_f32 v244, v80, v84
	v_dual_sub_f32 v243, v79, v83 :: v_dual_sub_f32 v242, v78, v82
	v_dual_sub_f32 v37, v69, v77 :: v_dual_sub_f32 v36, v68, v76
	v_dual_sub_f32 v35, v67, v75 :: v_dual_sub_f32 v34, v66, v74
	v_dual_sub_f32 v249, v65, v73 :: v_dual_sub_f32 v248, v64, v72
	v_dual_sub_f32 v247, v63, v71 :: v_dual_sub_f32 v246, v62, v70
	v_dual_sub_f32 v57, v49, v57 :: v_dual_sub_f32 v56, v48, v56
	v_dual_sub_f32 v55, v47, v55 :: v_dual_sub_f32 v54, v46, v54
	v_dual_sub_f32 v67, v101, v105 :: v_dual_sub_f32 v66, v100, v104
	v_dual_sub_f32 v63, v99, v103 :: v_dual_sub_f32 v62, v98, v102
	v_dual_sub_f32 v49, v89, v97 :: v_dual_sub_f32 v48, v88, v96
	v_dual_sub_f32 v47, v87, v95 :: v_dual_sub_f32 v46, v86, v94
	s_set_vgpr_msb 64                       ;  msbs: dst=1 src0=0 src1=0 src2=0
	v_dual_sub_f32 v9 /*v265*/, v13, v93 :: v_dual_sub_f32 v8 /*v264*/, v12, v92
	v_dual_sub_f32 v7 /*v263*/, v11, v91 :: v_dual_sub_f32 v6 /*v262*/, v10, v90
	;; [unrolled: 1-line block ×3, first 2 shown]
	s_set_vgpr_msb 0                        ;  msbs: dst=0 src0=0 src1=0 src2=0
	v_dual_sub_f32 v255, v3, v7 :: v_dual_sub_f32 v254, v2, v6
	s_set_vgpr_msb 64                       ;  msbs: dst=1 src0=0 src1=0 src2=0
	v_dual_sub_f32 v5 /*v261*/, v113, v121 :: v_dual_sub_f32 v4 /*v260*/, v112, v120
	v_dual_sub_f32 v3 /*v259*/, v111, v119 :: v_dual_sub_f32 v2 /*v258*/, v110, v118
	s_set_vgpr_msb 0                        ;  msbs: dst=0 src0=0 src1=0 src2=0
	v_dual_sub_f32 v253, v125, v129 :: v_dual_sub_f32 v252, v124, v128
	v_dual_sub_f32 v251, v123, v127 :: v_dual_sub_f32 v250, v122, v126
	s_set_vgpr_msb 64                       ;  msbs: dst=1 src0=0 src1=0 src2=0
	v_dual_sub_f32 v17 /*v273*/, v17, v21 :: v_dual_sub_f32 v16 /*v272*/, v16, v20
	v_dual_sub_f32 v15 /*v271*/, v15, v19 :: v_dual_sub_f32 v14 /*v270*/, v14, v18
	;; [unrolled: 1-line block ×4, first 2 shown]
	s_set_vgpr_msb 0                        ;  msbs: dst=0 src0=0 src1=0 src2=0
	v_pk_add_f32 v[60:61], v[40:41], v[50:51]
	v_pk_add_f32 v[64:65], v[38:39], v[44:45]
	;; [unrolled: 1-line block ×4, first 2 shown]
	s_set_vgpr_msb 4                        ;  msbs: dst=0 src0=0 src1=1 src2=0
	v_pk_add_f32 v[72:73], v[66:67], v[8:9] /*v[264:265]*/
	s_set_vgpr_msb 5                        ;  msbs: dst=0 src0=1 src1=1 src2=0
	v_pk_add_f32 v[76:77], v[4:5] /*v[260:261]*/, v[16:17] /*v[272:273]*/
	s_set_vgpr_msb 4                        ;  msbs: dst=0 src0=0 src1=1 src2=0
	v_pk_add_f32 v[74:75], v[62:63], v[6:7] /*v[262:263]*/
	s_set_vgpr_msb 5                        ;  msbs: dst=0 src0=1 src1=1 src2=0
	v_pk_add_f32 v[78:79], v[2:3] /*v[258:259]*/, v[14:15] /*v[270:271]*/
	s_set_vgpr_msb 0                        ;  msbs: dst=0 src0=0 src1=0 src2=0
	v_pk_add_f32 v[80:81], v[42:43], v[58:59]
	v_pk_add_f32 v[82:83], v[32:33], v[52:53]
	;; [unrolled: 1-line block ×4, first 2 shown]
	s_set_vgpr_msb 4                        ;  msbs: dst=0 src0=0 src1=1 src2=0
	v_pk_add_f32 v[88:89], v[48:49], v[0:1] /*v[256:257]*/
	s_set_vgpr_msb 0                        ;  msbs: dst=0 src0=0 src1=0 src2=0
	v_pk_add_f32 v[90:91], v[46:47], v[254:255]
	s_set_vgpr_msb 4                        ;  msbs: dst=0 src0=0 src1=1 src2=0
	v_pk_add_f32 v[92:93], v[252:253], v[12:13] /*v[268:269]*/
	v_pk_add_f32 v[94:95], v[250:251], v[10:11] /*v[266:267]*/
	s_set_vgpr_msb 0                        ;  msbs: dst=0 src0=0 src1=0 src2=0
	v_pk_add_f32 v[0:1], v[60:61], v[68:69]
	v_pk_add_f32 v[2:3], v[64:65], v[70:71]
	;; [unrolled: 1-line block ×8, first 2 shown]
	s_and_saveexec_b32 s16, s15
	s_cbranch_execz .LBB38_36
; %bb.35:
	s_mov_b32 s18, s20
	s_mov_b32 s19, s20
	v_mov_b64_e32 v[22:23], s[20:21]
	v_mov_b64_e32 v[18:19], s[18:19]
	v_pk_add_f32 v[16:17], v[0:1], v[4:5]
	v_pk_add_f32 v[20:21], v[8:9], v[12:13]
	;; [unrolled: 1-line block ×4, first 2 shown]
	s_delay_alu instid0(VALU_DEP_3) | instskip(SKIP_1) | instid1(VALU_DEP_4)
	v_pk_mul_f32 v[20:21], v[18:19], v[20:21]
	v_pk_mul_f32 v[16:17], v[18:19], v[16:17]
	;; [unrolled: 1-line block ×3, first 2 shown]
	s_delay_alu instid0(VALU_DEP_4) | instskip(NEXT) | instid1(VALU_DEP_4)
	v_pk_mul_f32 v[22:23], v[22:23], v[26:27]
	v_cvt_pk_bf16_f32 v19, v20, v21
	s_delay_alu instid0(VALU_DEP_4) | instskip(NEXT) | instid1(VALU_DEP_4)
	v_cvt_pk_bf16_f32 v17, v16, v17
	v_cvt_pk_bf16_f32 v18, v24, v25
	s_delay_alu instid0(VALU_DEP_4)
	v_cvt_pk_bf16_f32 v16, v22, v23
	s_set_vgpr_msb 1                        ;  msbs: dst=0 src0=1 src1=0 src2=0
	global_store_b128 v32 /*v288*/, v[16:19], s[0:1] scale_offset
.LBB38_36:
	s_wait_xcnt 0x0
	s_or_b32 exec_lo, exec_lo, s16
	s_set_vgpr_msb 0                        ;  msbs: dst=0 src0=0 src1=0 src2=0
	v_dual_sub_f32 v99, v181, v185 :: v_dual_sub_f32 v98, v180, v184
	v_dual_sub_f32 v97, v179, v183 :: v_dual_sub_f32 v96, v178, v182
	;; [unrolled: 1-line block ×16, first 2 shown]
	v_pk_add_f32 v[16:17], v[98:99], v[106:107]
	v_pk_add_f32 v[18:19], v[96:97], v[104:105]
	;; [unrolled: 1-line block ×8, first 2 shown]
	s_and_saveexec_b32 s15, s14
	s_cbranch_execz .LBB38_38
; %bb.37:
	s_mov_b32 s16, s20
	s_mov_b32 s17, s20
	v_mov_b64_e32 v[182:183], s[20:21]
	v_mov_b64_e32 v[178:179], s[16:17]
	v_pk_add_f32 v[128:129], v[16:17], v[20:21]
	v_pk_add_f32 v[180:181], v[24:25], v[28:29]
	;; [unrolled: 1-line block ×4, first 2 shown]
	s_delay_alu instid0(VALU_DEP_3) | instskip(SKIP_1) | instid1(VALU_DEP_4)
	v_pk_mul_f32 v[180:181], v[178:179], v[180:181]
	v_pk_mul_f32 v[128:129], v[178:179], v[128:129]
	;; [unrolled: 1-line block ×3, first 2 shown]
	s_delay_alu instid0(VALU_DEP_4) | instskip(NEXT) | instid1(VALU_DEP_4)
	v_pk_mul_f32 v[182:183], v[182:183], v[186:187]
	v_cvt_pk_bf16_f32 v181, v180, v181
	s_delay_alu instid0(VALU_DEP_4) | instskip(NEXT) | instid1(VALU_DEP_4)
	v_cvt_pk_bf16_f32 v179, v128, v129
	v_cvt_pk_bf16_f32 v180, v184, v185
	s_delay_alu instid0(VALU_DEP_4)
	v_cvt_pk_bf16_f32 v178, v182, v183
	s_set_vgpr_msb 1                        ;  msbs: dst=0 src0=1 src1=0 src2=0
	global_store_b128 v31 /*v287*/, v[178:181], s[0:1] scale_offset
.LBB38_38:
	s_wait_xcnt 0x0
	s_or_b32 exec_lo, exec_lo, s15
	s_set_vgpr_msb 0                        ;  msbs: dst=0 src0=0 src1=0 src2=0
	v_dual_sub_f32 v183, v41, v51 :: v_dual_sub_f32 v182, v40, v50
	v_dual_sub_f32 v181, v39, v45 :: v_dual_sub_f32 v180, v38, v44
	;; [unrolled: 1-line block ×8, first 2 shown]
	s_set_vgpr_msb 4                        ;  msbs: dst=0 src0=0 src1=1 src2=0
	v_dual_sub_f32 v191, v67, v9 /*v265*/ :: v_dual_sub_f32 v190, v66, v8 /*v264*/
	v_dual_sub_f32 v189, v63, v7 /*v263*/ :: v_dual_sub_f32 v188, v62, v6 /*v262*/
	;; [unrolled: 1-line block ×3, first 2 shown]
	s_set_vgpr_msb 0                        ;  msbs: dst=0 src0=0 src1=0 src2=0
	v_dual_sub_f32 v185, v47, v255 :: v_dual_sub_f32 v184, v46, v254
	s_set_vgpr_msb 5                        ;  msbs: dst=0 src0=1 src1=1 src2=0
	v_dual_sub_f32 v207, v5 /*v261*/, v17 /*v273*/ :: v_dual_sub_f32 v206, v4 /*v260*/, v16 /*v272*/
	v_dual_sub_f32 v205, v3 /*v259*/, v15 /*v271*/ :: v_dual_sub_f32 v204, v2 /*v258*/, v14 /*v270*/
	s_set_vgpr_msb 4                        ;  msbs: dst=0 src0=0 src1=1 src2=0
	v_dual_sub_f32 v203, v253, v13 /*v269*/ :: v_dual_sub_f32 v202, v252, v12 /*v268*/
	v_dual_sub_f32 v201, v251, v11 /*v267*/ :: v_dual_sub_f32 v200, v250, v10 /*v266*/
	s_set_vgpr_msb 0                        ;  msbs: dst=0 src0=0 src1=0 src2=0
	v_pk_add_f32 v[32:33], v[182:183], v[198:199]
	v_pk_add_f32 v[34:35], v[180:181], v[196:197]
	;; [unrolled: 1-line block ×8, first 2 shown]
	s_and_saveexec_b32 s14, s13
	s_cbranch_execz .LBB38_40
; %bb.39:
	s_mov_b32 s16, s20
	s_mov_b32 s17, s20
	v_mov_b64_e32 v[54:55], s[20:21]
	v_mov_b64_e32 v[48:49], s[16:17]
	v_pk_add_f32 v[46:47], v[32:33], v[36:37]
	v_pk_add_f32 v[52:53], v[40:41], v[44:45]
	v_pk_add_f32 v[56:57], v[42:43], v[50:51]
	v_pk_add_f32 v[58:59], v[34:35], v[38:39]
	s_delay_alu instid0(VALU_DEP_3) | instskip(SKIP_1) | instid1(VALU_DEP_4)
	v_pk_mul_f32 v[52:53], v[48:49], v[52:53]
	v_pk_mul_f32 v[46:47], v[48:49], v[46:47]
	v_pk_mul_f32 v[56:57], v[54:55], v[56:57]
	s_delay_alu instid0(VALU_DEP_4) | instskip(NEXT) | instid1(VALU_DEP_4)
	v_pk_mul_f32 v[54:55], v[54:55], v[58:59]
	v_cvt_pk_bf16_f32 v49, v52, v53
	s_delay_alu instid0(VALU_DEP_4) | instskip(NEXT) | instid1(VALU_DEP_4)
	v_cvt_pk_bf16_f32 v47, v46, v47
	v_cvt_pk_bf16_f32 v48, v56, v57
	s_delay_alu instid0(VALU_DEP_4)
	v_cvt_pk_bf16_f32 v46, v54, v55
	s_set_vgpr_msb 1                        ;  msbs: dst=0 src0=1 src1=0 src2=0
	global_store_b128 v30 /*v286*/, v[46:49], s[0:1] scale_offset
.LBB38_40:
	s_wait_xcnt 0x0
	s_or_b32 exec_lo, exec_lo, s14
	s_set_vgpr_msb 0                        ;  msbs: dst=0 src0=0 src1=0 src2=0
	v_dual_sub_f32 v47, v153, v161 :: v_dual_sub_f32 v46, v152, v160
	v_dual_sub_f32 v49, v149, v159 :: v_dual_sub_f32 v48, v148, v158
	v_dual_sub_f32 v53, v147, v155 :: v_dual_sub_f32 v52, v146, v154
	v_dual_sub_f32 v55, v151, v157 :: v_dual_sub_f32 v54, v150, v156
	v_dual_sub_f32 v57, v171, v177 :: v_dual_sub_f32 v56, v170, v176
	v_dual_sub_f32 v59, v167, v175 :: v_dual_sub_f32 v58, v166, v174
	v_dual_sub_f32 v63, v165, v173 :: v_dual_sub_f32 v62, v164, v172
	v_dual_sub_f32 v67, v163, v169 :: v_dual_sub_f32 v66, v162, v168
	s_and_saveexec_b32 s13, s12
	s_cbranch_execz .LBB38_42
; %bb.41:
	s_mov_b32 s14, s20
	s_mov_b32 s15, s20
	v_mov_b64_e32 v[152:153], s[20:21]
	v_mov_b64_e32 v[148:149], s[14:15]
	v_pk_add_f32 v[146:147], v[46:47], v[52:53]
	v_pk_add_f32 v[150:151], v[56:57], v[62:63]
	v_pk_add_f32 v[154:155], v[58:59], v[66:67]
	v_pk_add_f32 v[156:157], v[48:49], v[54:55]
	s_delay_alu instid0(VALU_DEP_3) | instskip(SKIP_1) | instid1(VALU_DEP_4)
	v_pk_mul_f32 v[150:151], v[148:149], v[150:151]
	v_pk_mul_f32 v[146:147], v[148:149], v[146:147]
	v_pk_mul_f32 v[154:155], v[152:153], v[154:155]
	s_delay_alu instid0(VALU_DEP_4) | instskip(NEXT) | instid1(VALU_DEP_4)
	v_pk_mul_f32 v[152:153], v[152:153], v[156:157]
	v_cvt_pk_bf16_f32 v149, v150, v151
	s_delay_alu instid0(VALU_DEP_4) | instskip(NEXT) | instid1(VALU_DEP_4)
	v_cvt_pk_bf16_f32 v147, v146, v147
	v_cvt_pk_bf16_f32 v148, v154, v155
	s_delay_alu instid0(VALU_DEP_4)
	v_cvt_pk_bf16_f32 v146, v152, v153
	s_set_vgpr_msb 1                        ;  msbs: dst=0 src0=1 src1=0 src2=0
	global_store_b128 v29 /*v285*/, v[146:149], s[0:1] scale_offset
.LBB38_42:
	s_wait_xcnt 0x0
	s_or_b32 exec_lo, exec_lo, s13
	s_set_vgpr_msb 0                        ;  msbs: dst=0 src0=0 src1=0 src2=0
	v_dual_sub_f32 v61, v61, v69 :: v_dual_sub_f32 v60, v60, v68
	v_dual_sub_f32 v65, v65, v71 :: v_dual_sub_f32 v64, v64, v70
	v_dual_sub_f32 v69, v73, v77 :: v_dual_sub_f32 v68, v72, v76
	v_dual_sub_f32 v71, v75, v79 :: v_dual_sub_f32 v70, v74, v78
	v_dual_sub_f32 v73, v81, v85 :: v_dual_sub_f32 v72, v80, v84
	v_dual_sub_f32 v75, v83, v87 :: v_dual_sub_f32 v74, v82, v86
	v_dual_sub_f32 v79, v89, v93 :: v_dual_sub_f32 v78, v88, v92
	v_dual_sub_f32 v83, v91, v95 :: v_dual_sub_f32 v82, v90, v94
	;; [unrolled: 37-line block ×4, first 2 shown]
	s_and_saveexec_b32 s10, s2
	s_cbranch_execnz .LBB38_56
; %bb.47:
	s_or_b32 exec_lo, exec_lo, s10
	s_and_saveexec_b32 s2, s9
	s_cbranch_execnz .LBB38_57
.LBB38_48:
	s_or_b32 exec_lo, exec_lo, s2
	s_and_saveexec_b32 s2, s7
	s_cbranch_execnz .LBB38_58
.LBB38_49:
	s_or_b32 exec_lo, exec_lo, s2
	s_and_saveexec_b32 s2, s8
	s_cbranch_execnz .LBB38_59
.LBB38_50:
	s_or_b32 exec_lo, exec_lo, s2
	s_and_saveexec_b32 s2, s5
	s_cbranch_execnz .LBB38_60
.LBB38_51:
	s_or_b32 exec_lo, exec_lo, s2
	s_and_saveexec_b32 s2, s6
	s_cbranch_execnz .LBB38_61
.LBB38_52:
	s_or_b32 exec_lo, exec_lo, s2
	s_and_saveexec_b32 s2, s3
	s_cbranch_execnz .LBB38_62
.LBB38_53:
	s_or_b32 exec_lo, exec_lo, s2
	s_and_saveexec_b32 s2, s4
	s_cbranch_execnz .LBB38_63
.LBB38_54:
	s_or_b32 exec_lo, exec_lo, s2
	s_and_saveexec_b32 s2, vcc_lo
	s_cbranch_execnz .LBB38_64
.LBB38_55:
	s_sendmsg sendmsg(MSG_DEALLOC_VGPRS)
	s_endpgm
.LBB38_56:
	s_mov_b32 s12, s20
	s_mov_b32 s13, s20
	v_mov_b64_e32 v[118:119], s[20:21]
	v_mov_b64_e32 v[114:115], s[12:13]
	v_pk_add_f32 v[112:113], v[94:95], v[102:103]
	v_pk_add_f32 v[116:117], v[100:101], v[108:109]
	v_pk_add_f32 v[120:121], v[106:107], v[110:111]
	v_pk_add_f32 v[122:123], v[98:99], v[104:105]
	s_delay_alu instid0(VALU_DEP_3) | instskip(SKIP_1) | instid1(VALU_DEP_4)
	v_pk_mul_f32 v[116:117], v[114:115], v[116:117]
	v_pk_mul_f32 v[112:113], v[114:115], v[112:113]
	v_pk_mul_f32 v[120:121], v[118:119], v[120:121]
	s_delay_alu instid0(VALU_DEP_4) | instskip(NEXT) | instid1(VALU_DEP_4)
	v_pk_mul_f32 v[118:119], v[118:119], v[122:123]
	v_cvt_pk_bf16_f32 v115, v116, v117
	s_delay_alu instid0(VALU_DEP_4) | instskip(NEXT) | instid1(VALU_DEP_4)
	v_cvt_pk_bf16_f32 v113, v112, v113
	v_cvt_pk_bf16_f32 v114, v120, v121
	s_delay_alu instid0(VALU_DEP_4)
	v_cvt_pk_bf16_f32 v112, v118, v119
	s_set_vgpr_msb 1                        ;  msbs: dst=0 src0=1 src1=0 src2=0
	global_store_b128 v26 /*v282*/, v[112:115], s[0:1] scale_offset
	s_wait_xcnt 0x0
	s_or_b32 exec_lo, exec_lo, s10
	s_and_saveexec_b32 s2, s9
	s_set_vgpr_msb 0                        ;  msbs: dst=0 src0=0 src1=0 src2=0
	s_cbranch_execz .LBB38_48
.LBB38_57:
	s_mov_b32 s10, s20
	s_mov_b32 s11, s20
	v_mov_b64_e32 v[118:119], s[20:21]
	v_mov_b64_e32 v[116:117], s[10:11]
	v_dual_sub_f32 v113, v133, v137 :: v_dual_sub_f32 v115, v131, v135
	v_dual_sub_f32 v121, v141, v145 :: v_dual_sub_f32 v123, v139, v143
	;; [unrolled: 1-line block ×4, first 2 shown]
	s_delay_alu instid0(VALU_DEP_2) | instskip(NEXT) | instid1(VALU_DEP_3)
	v_pk_mul_f32 v[122:123], v[116:117], v[122:123]
	v_pk_mul_f32 v[120:121], v[118:119], v[120:121]
	s_delay_alu instid0(VALU_DEP_3) | instskip(NEXT) | instid1(VALU_DEP_4)
	v_pk_mul_f32 v[116:117], v[116:117], v[114:115]
	v_pk_mul_f32 v[118:119], v[118:119], v[112:113]
	s_delay_alu instid0(VALU_DEP_4) | instskip(NEXT) | instid1(VALU_DEP_4)
	v_cvt_pk_bf16_f32 v115, v122, v123
	v_cvt_pk_bf16_f32 v114, v120, v121
	s_delay_alu instid0(VALU_DEP_4) | instskip(NEXT) | instid1(VALU_DEP_4)
	v_cvt_pk_bf16_f32 v113, v116, v117
	v_cvt_pk_bf16_f32 v112, v118, v119
	s_set_vgpr_msb 1                        ;  msbs: dst=0 src0=1 src1=0 src2=0
	global_store_b128 v24 /*v280*/, v[112:115], s[0:1] scale_offset
	s_wait_xcnt 0x0
	s_or_b32 exec_lo, exec_lo, s2
	s_and_saveexec_b32 s2, s7
	s_set_vgpr_msb 0                        ;  msbs: dst=0 src0=0 src1=0 src2=0
	s_cbranch_execz .LBB38_49
.LBB38_58:
	s_mov_b32 s10, s20
	s_mov_b32 s11, s20
	v_mov_b64_e32 v[114:115], s[20:21]
	v_mov_b64_e32 v[112:113], s[10:11]
	v_dual_sub_f32 v3, v3, v7 :: v_dual_sub_f32 v1, v1, v5
	v_dual_sub_f32 v11, v11, v15 :: v_dual_sub_f32 v9, v9, v13
	;; [unrolled: 1-line block ×4, first 2 shown]
	s_delay_alu instid0(VALU_DEP_2) | instskip(NEXT) | instid1(VALU_DEP_3)
	v_pk_mul_f32 v[4:5], v[112:113], v[8:9]
	v_pk_mul_f32 v[6:7], v[114:115], v[10:11]
	s_delay_alu instid0(VALU_DEP_3) | instskip(NEXT) | instid1(VALU_DEP_4)
	v_pk_mul_f32 v[0:1], v[112:113], v[0:1]
	v_pk_mul_f32 v[8:9], v[114:115], v[2:3]
	s_delay_alu instid0(VALU_DEP_4) | instskip(NEXT) | instid1(VALU_DEP_4)
	v_cvt_pk_bf16_f32 v3, v4, v5
	v_cvt_pk_bf16_f32 v2, v6, v7
	s_delay_alu instid0(VALU_DEP_4) | instskip(NEXT) | instid1(VALU_DEP_4)
	v_cvt_pk_bf16_f32 v1, v0, v1
	v_cvt_pk_bf16_f32 v0, v8, v9
	s_set_vgpr_msb 1                        ;  msbs: dst=0 src0=1 src1=0 src2=0
	global_store_b128 v25 /*v281*/, v[0:3], s[0:1] scale_offset
	s_wait_xcnt 0x0
	s_or_b32 exec_lo, exec_lo, s2
	s_and_saveexec_b32 s2, s8
	s_set_vgpr_msb 0                        ;  msbs: dst=0 src0=0 src1=0 src2=0
	s_cbranch_execz .LBB38_50
.LBB38_59:
	s_mov_b32 s8, s20
	s_mov_b32 s9, s20
	v_mov_b64_e32 v[6:7], s[20:21]
	v_mov_b64_e32 v[4:5], s[8:9]
	v_dual_sub_f32 v1, v19, v23 :: v_dual_sub_f32 v3, v17, v21
	v_dual_sub_f32 v9, v27, v31 :: v_dual_sub_f32 v11, v25, v29
	;; [unrolled: 1-line block ×4, first 2 shown]
	s_delay_alu instid0(VALU_DEP_2) | instskip(NEXT) | instid1(VALU_DEP_3)
	v_pk_mul_f32 v[10:11], v[4:5], v[10:11]
	v_pk_mul_f32 v[8:9], v[6:7], v[8:9]
	s_delay_alu instid0(VALU_DEP_3) | instskip(NEXT) | instid1(VALU_DEP_4)
	v_pk_mul_f32 v[4:5], v[4:5], v[2:3]
	v_pk_mul_f32 v[6:7], v[6:7], v[0:1]
	s_delay_alu instid0(VALU_DEP_4) | instskip(NEXT) | instid1(VALU_DEP_4)
	v_cvt_pk_bf16_f32 v3, v10, v11
	v_cvt_pk_bf16_f32 v2, v8, v9
	s_delay_alu instid0(VALU_DEP_4) | instskip(NEXT) | instid1(VALU_DEP_4)
	v_cvt_pk_bf16_f32 v1, v4, v5
	v_cvt_pk_bf16_f32 v0, v6, v7
	s_set_vgpr_msb 1                        ;  msbs: dst=0 src0=1 src1=0 src2=0
	global_store_b128 v21 /*v277*/, v[0:3], s[0:1] scale_offset
	s_wait_xcnt 0x0
	s_or_b32 exec_lo, exec_lo, s2
	s_and_saveexec_b32 s2, s5
	s_set_vgpr_msb 0                        ;  msbs: dst=0 src0=0 src1=0 src2=0
	s_cbranch_execz .LBB38_51
.LBB38_60:
	s_mov_b32 s8, s20
	s_mov_b32 s9, s20
	v_mov_b64_e32 v[6:7], s[20:21]
	v_mov_b64_e32 v[4:5], s[8:9]
	v_dual_sub_f32 v1, v35, v39 :: v_dual_sub_f32 v3, v33, v37
	v_dual_sub_f32 v9, v43, v51 :: v_dual_sub_f32 v11, v41, v45
	;; [unrolled: 1-line block ×4, first 2 shown]
	s_delay_alu instid0(VALU_DEP_2) | instskip(NEXT) | instid1(VALU_DEP_3)
	v_pk_mul_f32 v[10:11], v[4:5], v[10:11]
	v_pk_mul_f32 v[8:9], v[6:7], v[8:9]
	s_delay_alu instid0(VALU_DEP_3) | instskip(NEXT) | instid1(VALU_DEP_4)
	v_pk_mul_f32 v[4:5], v[4:5], v[2:3]
	v_pk_mul_f32 v[6:7], v[6:7], v[0:1]
	s_delay_alu instid0(VALU_DEP_4) | instskip(NEXT) | instid1(VALU_DEP_4)
	v_cvt_pk_bf16_f32 v3, v10, v11
	v_cvt_pk_bf16_f32 v2, v8, v9
	s_delay_alu instid0(VALU_DEP_4) | instskip(NEXT) | instid1(VALU_DEP_4)
	v_cvt_pk_bf16_f32 v1, v4, v5
	v_cvt_pk_bf16_f32 v0, v6, v7
	s_set_vgpr_msb 1                        ;  msbs: dst=0 src0=1 src1=0 src2=0
	global_store_b128 v22 /*v278*/, v[0:3], s[0:1] scale_offset
	s_wait_xcnt 0x0
	s_or_b32 exec_lo, exec_lo, s2
	s_and_saveexec_b32 s2, s6
	s_set_vgpr_msb 0                        ;  msbs: dst=0 src0=0 src1=0 src2=0
	s_cbranch_execz .LBB38_52
.LBB38_61:
	s_mov_b32 s6, s20
	s_mov_b32 s7, s20
	v_mov_b64_e32 v[6:7], s[20:21]
	v_mov_b64_e32 v[4:5], s[6:7]
	v_dual_sub_f32 v1, v49, v55 :: v_dual_sub_f32 v3, v47, v53
	v_dual_sub_f32 v9, v59, v67 :: v_dual_sub_f32 v10, v56, v62
	v_dual_sub_f32 v11, v57, v63 :: v_dual_sub_f32 v8, v58, v66
	v_dual_sub_f32 v2, v46, v52 :: v_dual_sub_f32 v0, v48, v54
	s_delay_alu instid0(VALU_DEP_2) | instskip(NEXT) | instid1(VALU_DEP_3)
	v_pk_mul_f32 v[10:11], v[4:5], v[10:11]
	v_pk_mul_f32 v[8:9], v[6:7], v[8:9]
	s_delay_alu instid0(VALU_DEP_3) | instskip(NEXT) | instid1(VALU_DEP_4)
	v_pk_mul_f32 v[4:5], v[4:5], v[2:3]
	v_pk_mul_f32 v[6:7], v[6:7], v[0:1]
	s_delay_alu instid0(VALU_DEP_4) | instskip(NEXT) | instid1(VALU_DEP_4)
	v_cvt_pk_bf16_f32 v3, v10, v11
	v_cvt_pk_bf16_f32 v2, v8, v9
	s_delay_alu instid0(VALU_DEP_4) | instskip(NEXT) | instid1(VALU_DEP_4)
	v_cvt_pk_bf16_f32 v1, v4, v5
	v_cvt_pk_bf16_f32 v0, v6, v7
	s_set_vgpr_msb 1                        ;  msbs: dst=0 src0=1 src1=0 src2=0
	global_store_b128 v19 /*v275*/, v[0:3], s[0:1] scale_offset
	s_wait_xcnt 0x0
	s_or_b32 exec_lo, exec_lo, s2
	s_and_saveexec_b32 s2, s3
	s_set_vgpr_msb 0                        ;  msbs: dst=0 src0=0 src1=0 src2=0
	s_cbranch_execz .LBB38_53
.LBB38_62:
	s_mov_b32 s6, s20
	s_mov_b32 s7, s20
	v_mov_b64_e32 v[6:7], s[20:21]
	v_mov_b64_e32 v[4:5], s[6:7]
	v_dual_sub_f32 v1, v65, v71 :: v_dual_sub_f32 v10, v72, v78
	v_dual_sub_f32 v3, v61, v69 :: v_dual_sub_f32 v9, v75, v83
	;; [unrolled: 1-line block ×3, first 2 shown]
	v_sub_f32_e32 v2, v60, v68
	v_sub_f32_e32 v0, v64, v70
	s_delay_alu instid0(VALU_DEP_3) | instskip(NEXT) | instid1(VALU_DEP_4)
	v_pk_mul_f32 v[10:11], v[4:5], v[10:11]
	v_pk_mul_f32 v[8:9], v[6:7], v[8:9]
	s_delay_alu instid0(VALU_DEP_4) | instskip(NEXT) | instid1(VALU_DEP_4)
	v_pk_mul_f32 v[4:5], v[4:5], v[2:3]
	v_pk_mul_f32 v[6:7], v[6:7], v[0:1]
	s_delay_alu instid0(VALU_DEP_4) | instskip(NEXT) | instid1(VALU_DEP_4)
	v_cvt_pk_bf16_f32 v3, v10, v11
	v_cvt_pk_bf16_f32 v2, v8, v9
	s_delay_alu instid0(VALU_DEP_4) | instskip(NEXT) | instid1(VALU_DEP_4)
	v_cvt_pk_bf16_f32 v1, v4, v5
	v_cvt_pk_bf16_f32 v0, v6, v7
	s_set_vgpr_msb 1                        ;  msbs: dst=0 src0=1 src1=0 src2=0
	global_store_b128 v20 /*v276*/, v[0:3], s[0:1] scale_offset
	s_wait_xcnt 0x0
	s_or_b32 exec_lo, exec_lo, s2
	s_and_saveexec_b32 s2, s4
	s_set_vgpr_msb 0                        ;  msbs: dst=0 src0=0 src1=0 src2=0
	s_cbranch_execz .LBB38_54
.LBB38_63:
	s_mov_b32 s4, s20
	s_mov_b32 s5, s20
	v_mov_b64_e32 v[6:7], s[20:21]
	v_mov_b64_e32 v[4:5], s[4:5]
	v_dual_sub_f32 v1, v81, v87 :: v_dual_sub_f32 v9, v91, v97
	v_dual_sub_f32 v3, v77, v85 :: v_dual_sub_f32 v10, v88, v92
	;; [unrolled: 1-line block ×3, first 2 shown]
	v_sub_f32_e32 v2, v76, v84
	v_sub_f32_e32 v0, v80, v86
	s_delay_alu instid0(VALU_DEP_3) | instskip(NEXT) | instid1(VALU_DEP_4)
	v_pk_mul_f32 v[10:11], v[4:5], v[10:11]
	v_pk_mul_f32 v[8:9], v[6:7], v[8:9]
	s_delay_alu instid0(VALU_DEP_4) | instskip(NEXT) | instid1(VALU_DEP_4)
	v_pk_mul_f32 v[4:5], v[4:5], v[2:3]
	v_pk_mul_f32 v[6:7], v[6:7], v[0:1]
	s_delay_alu instid0(VALU_DEP_4) | instskip(NEXT) | instid1(VALU_DEP_4)
	v_cvt_pk_bf16_f32 v3, v10, v11
	v_cvt_pk_bf16_f32 v2, v8, v9
	s_delay_alu instid0(VALU_DEP_4) | instskip(NEXT) | instid1(VALU_DEP_4)
	v_cvt_pk_bf16_f32 v1, v4, v5
	v_cvt_pk_bf16_f32 v0, v6, v7
	s_set_vgpr_msb 1                        ;  msbs: dst=0 src0=1 src1=0 src2=0
	global_store_b128 v18 /*v274*/, v[0:3], s[0:1] scale_offset
	s_wait_xcnt 0x0
	s_or_b32 exec_lo, exec_lo, s2
	s_and_saveexec_b32 s2, vcc_lo
	s_set_vgpr_msb 0                        ;  msbs: dst=0 src0=0 src1=0 src2=0
	s_cbranch_execz .LBB38_55
.LBB38_64:
	s_mov_b32 s2, s20
	s_mov_b32 s3, s20
	v_mov_b64_e32 v[10:11], s[20:21]
	v_mov_b64_e32 v[8:9], s[2:3]
	v_dual_sub_f32 v1, v99, v105 :: v_dual_sub_f32 v4, v106, v110
	v_dual_sub_f32 v3, v95, v103 :: v_dual_sub_f32 v7, v101, v109
	;; [unrolled: 1-line block ×3, first 2 shown]
	v_sub_f32_e32 v2, v94, v102
	v_sub_f32_e32 v0, v98, v104
	s_delay_alu instid0(VALU_DEP_3) | instskip(NEXT) | instid1(VALU_DEP_4)
	v_pk_mul_f32 v[4:5], v[10:11], v[4:5]
	v_pk_mul_f32 v[6:7], v[8:9], v[6:7]
	s_delay_alu instid0(VALU_DEP_4) | instskip(NEXT) | instid1(VALU_DEP_4)
	v_pk_mul_f32 v[8:9], v[8:9], v[2:3]
	v_pk_mul_f32 v[10:11], v[10:11], v[0:1]
	s_delay_alu instid0(VALU_DEP_4) | instskip(NEXT) | instid1(VALU_DEP_4)
	v_cvt_pk_bf16_f32 v2, v4, v5
	v_cvt_pk_bf16_f32 v3, v6, v7
	s_delay_alu instid0(VALU_DEP_4) | instskip(NEXT) | instid1(VALU_DEP_4)
	v_cvt_pk_bf16_f32 v1, v8, v9
	v_cvt_pk_bf16_f32 v0, v10, v11
	s_set_vgpr_msb 1                        ;  msbs: dst=0 src0=1 src1=0 src2=0
	global_store_b128 v23 /*v279*/, v[0:3], s[0:1] scale_offset
	s_sendmsg sendmsg(MSG_DEALLOC_VGPRS)
	s_endpgm
	.section	.rodata,"a",@progbits
	.p2align	6, 0x0
	.amdhsa_kernel _Z30fast_hadamard_transform_kernelI37fast_hadamard_transform_kernel_traitsILi256ELi15E14__hip_bfloat16EEv18HadamardParamsBase
		.amdhsa_group_segment_fixed_size 0
		.amdhsa_private_segment_fixed_size 0
		.amdhsa_kernarg_size 312
		.amdhsa_user_sgpr_count 2
		.amdhsa_user_sgpr_dispatch_ptr 0
		.amdhsa_user_sgpr_queue_ptr 0
		.amdhsa_user_sgpr_kernarg_segment_ptr 1
		.amdhsa_user_sgpr_dispatch_id 0
		.amdhsa_user_sgpr_kernarg_preload_length 0
		.amdhsa_user_sgpr_kernarg_preload_offset 0
		.amdhsa_user_sgpr_private_segment_size 0
		.amdhsa_wavefront_size32 1
		.amdhsa_uses_dynamic_stack 0
		.amdhsa_enable_private_segment 0
		.amdhsa_system_sgpr_workgroup_id_x 1
		.amdhsa_system_sgpr_workgroup_id_y 0
		.amdhsa_system_sgpr_workgroup_id_z 0
		.amdhsa_system_sgpr_workgroup_info 0
		.amdhsa_system_vgpr_workitem_id 0
		.amdhsa_next_free_vgpr 289
		.amdhsa_next_free_sgpr 30
		.amdhsa_named_barrier_count 0
		.amdhsa_reserve_vcc 1
		.amdhsa_float_round_mode_32 0
		.amdhsa_float_round_mode_16_64 0
		.amdhsa_float_denorm_mode_32 3
		.amdhsa_float_denorm_mode_16_64 3
		.amdhsa_fp16_overflow 0
		.amdhsa_memory_ordered 1
		.amdhsa_forward_progress 1
		.amdhsa_inst_pref_size 254
		.amdhsa_round_robin_scheduling 0
		.amdhsa_exception_fp_ieee_invalid_op 0
		.amdhsa_exception_fp_denorm_src 0
		.amdhsa_exception_fp_ieee_div_zero 0
		.amdhsa_exception_fp_ieee_overflow 0
		.amdhsa_exception_fp_ieee_underflow 0
		.amdhsa_exception_fp_ieee_inexact 0
		.amdhsa_exception_int_div_zero 0
	.end_amdhsa_kernel
	.section	.text._Z30fast_hadamard_transform_kernelI37fast_hadamard_transform_kernel_traitsILi256ELi15E14__hip_bfloat16EEv18HadamardParamsBase,"axG",@progbits,_Z30fast_hadamard_transform_kernelI37fast_hadamard_transform_kernel_traitsILi256ELi15E14__hip_bfloat16EEv18HadamardParamsBase,comdat
.Lfunc_end38:
	.size	_Z30fast_hadamard_transform_kernelI37fast_hadamard_transform_kernel_traitsILi256ELi15E14__hip_bfloat16EEv18HadamardParamsBase, .Lfunc_end38-_Z30fast_hadamard_transform_kernelI37fast_hadamard_transform_kernel_traitsILi256ELi15E14__hip_bfloat16EEv18HadamardParamsBase
                                        ; -- End function
	.set _Z30fast_hadamard_transform_kernelI37fast_hadamard_transform_kernel_traitsILi256ELi15E14__hip_bfloat16EEv18HadamardParamsBase.num_vgpr, 289
	.set _Z30fast_hadamard_transform_kernelI37fast_hadamard_transform_kernel_traitsILi256ELi15E14__hip_bfloat16EEv18HadamardParamsBase.num_agpr, 0
	.set _Z30fast_hadamard_transform_kernelI37fast_hadamard_transform_kernel_traitsILi256ELi15E14__hip_bfloat16EEv18HadamardParamsBase.numbered_sgpr, 30
	.set _Z30fast_hadamard_transform_kernelI37fast_hadamard_transform_kernel_traitsILi256ELi15E14__hip_bfloat16EEv18HadamardParamsBase.num_named_barrier, 0
	.set _Z30fast_hadamard_transform_kernelI37fast_hadamard_transform_kernel_traitsILi256ELi15E14__hip_bfloat16EEv18HadamardParamsBase.private_seg_size, 0
	.set _Z30fast_hadamard_transform_kernelI37fast_hadamard_transform_kernel_traitsILi256ELi15E14__hip_bfloat16EEv18HadamardParamsBase.uses_vcc, 1
	.set _Z30fast_hadamard_transform_kernelI37fast_hadamard_transform_kernel_traitsILi256ELi15E14__hip_bfloat16EEv18HadamardParamsBase.uses_flat_scratch, 0
	.set _Z30fast_hadamard_transform_kernelI37fast_hadamard_transform_kernel_traitsILi256ELi15E14__hip_bfloat16EEv18HadamardParamsBase.has_dyn_sized_stack, 0
	.set _Z30fast_hadamard_transform_kernelI37fast_hadamard_transform_kernel_traitsILi256ELi15E14__hip_bfloat16EEv18HadamardParamsBase.has_recursion, 0
	.set _Z30fast_hadamard_transform_kernelI37fast_hadamard_transform_kernel_traitsILi256ELi15E14__hip_bfloat16EEv18HadamardParamsBase.has_indirect_call, 0
	.section	.AMDGPU.csdata,"",@progbits
; Kernel info:
; codeLenInByte = 32412
; TotalNumSgprs: 32
; NumVgprs: 289
; ScratchSize: 0
; MemoryBound: 0
; FloatMode: 240
; IeeeMode: 1
; LDSByteSize: 0 bytes/workgroup (compile time only)
; SGPRBlocks: 0
; VGPRBlocks: 18
; NumSGPRsForWavesPerEU: 32
; NumVGPRsForWavesPerEU: 289
; NamedBarCnt: 0
; Occupancy: 3
; WaveLimiterHint : 0
; COMPUTE_PGM_RSRC2:SCRATCH_EN: 0
; COMPUTE_PGM_RSRC2:USER_SGPR: 2
; COMPUTE_PGM_RSRC2:TRAP_HANDLER: 0
; COMPUTE_PGM_RSRC2:TGID_X_EN: 1
; COMPUTE_PGM_RSRC2:TGID_Y_EN: 0
; COMPUTE_PGM_RSRC2:TGID_Z_EN: 0
; COMPUTE_PGM_RSRC2:TIDIG_COMP_CNT: 0
	.section	.AMDGPU.gpr_maximums,"",@progbits
	.set amdgpu.max_num_vgpr, 0
	.set amdgpu.max_num_agpr, 0
	.set amdgpu.max_num_sgpr, 0
	.section	.AMDGPU.csdata,"",@progbits
	.type	__hip_cuid_bfffd7278d1ccb4d,@object ; @__hip_cuid_bfffd7278d1ccb4d
	.section	.bss,"aw",@nobits
	.globl	__hip_cuid_bfffd7278d1ccb4d
__hip_cuid_bfffd7278d1ccb4d:
	.byte	0                               ; 0x0
	.size	__hip_cuid_bfffd7278d1ccb4d, 1

	.ident	"AMD clang version 22.0.0git (https://github.com/RadeonOpenCompute/llvm-project roc-7.2.4 26084 f58b06dce1f9c15707c5f808fd002e18c2accf7e)"
	.section	".note.GNU-stack","",@progbits
	.addrsig
	.addrsig_sym __hip_cuid_bfffd7278d1ccb4d
	.amdgpu_metadata
---
amdhsa.kernels:
  - .args:
      - .offset:         0
        .size:           56
        .value_kind:     by_value
      - .offset:         56
        .size:           4
        .value_kind:     hidden_block_count_x
      - .offset:         60
        .size:           4
        .value_kind:     hidden_block_count_y
      - .offset:         64
        .size:           4
        .value_kind:     hidden_block_count_z
      - .offset:         68
        .size:           2
        .value_kind:     hidden_group_size_x
      - .offset:         70
        .size:           2
        .value_kind:     hidden_group_size_y
      - .offset:         72
        .size:           2
        .value_kind:     hidden_group_size_z
      - .offset:         74
        .size:           2
        .value_kind:     hidden_remainder_x
      - .offset:         76
        .size:           2
        .value_kind:     hidden_remainder_y
      - .offset:         78
        .size:           2
        .value_kind:     hidden_remainder_z
      - .offset:         96
        .size:           8
        .value_kind:     hidden_global_offset_x
      - .offset:         104
        .size:           8
        .value_kind:     hidden_global_offset_y
      - .offset:         112
        .size:           8
        .value_kind:     hidden_global_offset_z
      - .offset:         120
        .size:           2
        .value_kind:     hidden_grid_dims
    .group_segment_fixed_size: 0
    .kernarg_segment_align: 8
    .kernarg_segment_size: 312
    .language:       OpenCL C
    .language_version:
      - 2
      - 0
    .max_flat_workgroup_size: 1
    .name:           _Z30fast_hadamard_transform_kernelI37fast_hadamard_transform_kernel_traitsILi1ELi3EfEEv18HadamardParamsBase
    .private_segment_fixed_size: 0
    .sgpr_count:     27
    .sgpr_spill_count: 0
    .symbol:         _Z30fast_hadamard_transform_kernelI37fast_hadamard_transform_kernel_traitsILi1ELi3EfEEv18HadamardParamsBase.kd
    .uniform_work_group_size: 1
    .uses_dynamic_stack: false
    .vgpr_count:     24
    .vgpr_spill_count: 0
    .wavefront_size: 32
  - .args:
      - .offset:         0
        .size:           56
        .value_kind:     by_value
      - .offset:         56
        .size:           4
        .value_kind:     hidden_block_count_x
      - .offset:         60
        .size:           4
        .value_kind:     hidden_block_count_y
      - .offset:         64
        .size:           4
        .value_kind:     hidden_block_count_z
      - .offset:         68
        .size:           2
        .value_kind:     hidden_group_size_x
      - .offset:         70
        .size:           2
        .value_kind:     hidden_group_size_y
      - .offset:         72
        .size:           2
        .value_kind:     hidden_group_size_z
      - .offset:         74
        .size:           2
        .value_kind:     hidden_remainder_x
      - .offset:         76
        .size:           2
        .value_kind:     hidden_remainder_y
      - .offset:         78
        .size:           2
        .value_kind:     hidden_remainder_z
      - .offset:         96
        .size:           8
        .value_kind:     hidden_global_offset_x
      - .offset:         104
        .size:           8
        .value_kind:     hidden_global_offset_y
      - .offset:         112
        .size:           8
        .value_kind:     hidden_global_offset_z
      - .offset:         120
        .size:           2
        .value_kind:     hidden_grid_dims
    .group_segment_fixed_size: 0
    .kernarg_segment_align: 8
    .kernarg_segment_size: 312
    .language:       OpenCL C
    .language_version:
      - 2
      - 0
    .max_flat_workgroup_size: 2
    .name:           _Z30fast_hadamard_transform_kernelI37fast_hadamard_transform_kernel_traitsILi2ELi4EfEEv18HadamardParamsBase
    .private_segment_fixed_size: 0
    .sgpr_count:     17
    .sgpr_spill_count: 0
    .symbol:         _Z30fast_hadamard_transform_kernelI37fast_hadamard_transform_kernel_traitsILi2ELi4EfEEv18HadamardParamsBase.kd
    .uniform_work_group_size: 1
    .uses_dynamic_stack: false
    .vgpr_count:     22
    .vgpr_spill_count: 0
    .wavefront_size: 32
  - .args:
      - .offset:         0
        .size:           56
        .value_kind:     by_value
      - .offset:         56
        .size:           4
        .value_kind:     hidden_block_count_x
      - .offset:         60
        .size:           4
        .value_kind:     hidden_block_count_y
      - .offset:         64
        .size:           4
        .value_kind:     hidden_block_count_z
      - .offset:         68
        .size:           2
        .value_kind:     hidden_group_size_x
      - .offset:         70
        .size:           2
        .value_kind:     hidden_group_size_y
      - .offset:         72
        .size:           2
        .value_kind:     hidden_group_size_z
      - .offset:         74
        .size:           2
        .value_kind:     hidden_remainder_x
      - .offset:         76
        .size:           2
        .value_kind:     hidden_remainder_y
      - .offset:         78
        .size:           2
        .value_kind:     hidden_remainder_z
      - .offset:         96
        .size:           8
        .value_kind:     hidden_global_offset_x
      - .offset:         104
        .size:           8
        .value_kind:     hidden_global_offset_y
      - .offset:         112
        .size:           8
        .value_kind:     hidden_global_offset_z
      - .offset:         120
        .size:           2
        .value_kind:     hidden_grid_dims
    .group_segment_fixed_size: 0
    .kernarg_segment_align: 8
    .kernarg_segment_size: 312
    .language:       OpenCL C
    .language_version:
      - 2
      - 0
    .max_flat_workgroup_size: 4
    .name:           _Z30fast_hadamard_transform_kernelI37fast_hadamard_transform_kernel_traitsILi4ELi5EfEEv18HadamardParamsBase
    .private_segment_fixed_size: 0
    .sgpr_count:     18
    .sgpr_spill_count: 0
    .symbol:         _Z30fast_hadamard_transform_kernelI37fast_hadamard_transform_kernel_traitsILi4ELi5EfEEv18HadamardParamsBase.kd
    .uniform_work_group_size: 1
    .uses_dynamic_stack: false
    .vgpr_count:     23
    .vgpr_spill_count: 0
    .wavefront_size: 32
  - .args:
      - .offset:         0
        .size:           56
        .value_kind:     by_value
      - .offset:         56
        .size:           4
        .value_kind:     hidden_block_count_x
      - .offset:         60
        .size:           4
        .value_kind:     hidden_block_count_y
      - .offset:         64
        .size:           4
        .value_kind:     hidden_block_count_z
      - .offset:         68
        .size:           2
        .value_kind:     hidden_group_size_x
      - .offset:         70
        .size:           2
        .value_kind:     hidden_group_size_y
      - .offset:         72
        .size:           2
        .value_kind:     hidden_group_size_z
      - .offset:         74
        .size:           2
        .value_kind:     hidden_remainder_x
      - .offset:         76
        .size:           2
        .value_kind:     hidden_remainder_y
      - .offset:         78
        .size:           2
        .value_kind:     hidden_remainder_z
      - .offset:         96
        .size:           8
        .value_kind:     hidden_global_offset_x
      - .offset:         104
        .size:           8
        .value_kind:     hidden_global_offset_y
      - .offset:         112
        .size:           8
        .value_kind:     hidden_global_offset_z
      - .offset:         120
        .size:           2
        .value_kind:     hidden_grid_dims
    .group_segment_fixed_size: 0
    .kernarg_segment_align: 8
    .kernarg_segment_size: 312
    .language:       OpenCL C
    .language_version:
      - 2
      - 0
    .max_flat_workgroup_size: 8
    .name:           _Z30fast_hadamard_transform_kernelI37fast_hadamard_transform_kernel_traitsILi8ELi6EfEEv18HadamardParamsBase
    .private_segment_fixed_size: 0
    .sgpr_count:     18
    .sgpr_spill_count: 0
    .symbol:         _Z30fast_hadamard_transform_kernelI37fast_hadamard_transform_kernel_traitsILi8ELi6EfEEv18HadamardParamsBase.kd
    .uniform_work_group_size: 1
    .uses_dynamic_stack: false
    .vgpr_count:     23
    .vgpr_spill_count: 0
    .wavefront_size: 32
  - .args:
      - .offset:         0
        .size:           56
        .value_kind:     by_value
      - .offset:         56
        .size:           4
        .value_kind:     hidden_block_count_x
      - .offset:         60
        .size:           4
        .value_kind:     hidden_block_count_y
      - .offset:         64
        .size:           4
        .value_kind:     hidden_block_count_z
      - .offset:         68
        .size:           2
        .value_kind:     hidden_group_size_x
      - .offset:         70
        .size:           2
        .value_kind:     hidden_group_size_y
      - .offset:         72
        .size:           2
        .value_kind:     hidden_group_size_z
      - .offset:         74
        .size:           2
        .value_kind:     hidden_remainder_x
      - .offset:         76
        .size:           2
        .value_kind:     hidden_remainder_y
      - .offset:         78
        .size:           2
        .value_kind:     hidden_remainder_z
      - .offset:         96
        .size:           8
        .value_kind:     hidden_global_offset_x
      - .offset:         104
        .size:           8
        .value_kind:     hidden_global_offset_y
      - .offset:         112
        .size:           8
        .value_kind:     hidden_global_offset_z
      - .offset:         120
        .size:           2
        .value_kind:     hidden_grid_dims
    .group_segment_fixed_size: 0
    .kernarg_segment_align: 8
    .kernarg_segment_size: 312
    .language:       OpenCL C
    .language_version:
      - 2
      - 0
    .max_flat_workgroup_size: 16
    .name:           _Z30fast_hadamard_transform_kernelI37fast_hadamard_transform_kernel_traitsILi16ELi7EfEEv18HadamardParamsBase
    .private_segment_fixed_size: 0
    .sgpr_count:     18
    .sgpr_spill_count: 0
    .symbol:         _Z30fast_hadamard_transform_kernelI37fast_hadamard_transform_kernel_traitsILi16ELi7EfEEv18HadamardParamsBase.kd
    .uniform_work_group_size: 1
    .uses_dynamic_stack: false
    .vgpr_count:     26
    .vgpr_spill_count: 0
    .wavefront_size: 32
  - .args:
      - .offset:         0
        .size:           56
        .value_kind:     by_value
      - .offset:         56
        .size:           4
        .value_kind:     hidden_block_count_x
      - .offset:         60
        .size:           4
        .value_kind:     hidden_block_count_y
      - .offset:         64
        .size:           4
        .value_kind:     hidden_block_count_z
      - .offset:         68
        .size:           2
        .value_kind:     hidden_group_size_x
      - .offset:         70
        .size:           2
        .value_kind:     hidden_group_size_y
      - .offset:         72
        .size:           2
        .value_kind:     hidden_group_size_z
      - .offset:         74
        .size:           2
        .value_kind:     hidden_remainder_x
      - .offset:         76
        .size:           2
        .value_kind:     hidden_remainder_y
      - .offset:         78
        .size:           2
        .value_kind:     hidden_remainder_z
      - .offset:         96
        .size:           8
        .value_kind:     hidden_global_offset_x
      - .offset:         104
        .size:           8
        .value_kind:     hidden_global_offset_y
      - .offset:         112
        .size:           8
        .value_kind:     hidden_global_offset_z
      - .offset:         120
        .size:           2
        .value_kind:     hidden_grid_dims
    .group_segment_fixed_size: 0
    .kernarg_segment_align: 8
    .kernarg_segment_size: 312
    .language:       OpenCL C
    .language_version:
      - 2
      - 0
    .max_flat_workgroup_size: 32
    .name:           _Z30fast_hadamard_transform_kernelI37fast_hadamard_transform_kernel_traitsILi32ELi8EfEEv18HadamardParamsBase
    .private_segment_fixed_size: 0
    .sgpr_count:     18
    .sgpr_spill_count: 0
    .symbol:         _Z30fast_hadamard_transform_kernelI37fast_hadamard_transform_kernel_traitsILi32ELi8EfEEv18HadamardParamsBase.kd
    .uniform_work_group_size: 1
    .uses_dynamic_stack: false
    .vgpr_count:     22
    .vgpr_spill_count: 0
    .wavefront_size: 32
  - .args:
      - .offset:         0
        .size:           56
        .value_kind:     by_value
      - .offset:         56
        .size:           4
        .value_kind:     hidden_block_count_x
      - .offset:         60
        .size:           4
        .value_kind:     hidden_block_count_y
      - .offset:         64
        .size:           4
        .value_kind:     hidden_block_count_z
      - .offset:         68
        .size:           2
        .value_kind:     hidden_group_size_x
      - .offset:         70
        .size:           2
        .value_kind:     hidden_group_size_y
      - .offset:         72
        .size:           2
        .value_kind:     hidden_group_size_z
      - .offset:         74
        .size:           2
        .value_kind:     hidden_remainder_x
      - .offset:         76
        .size:           2
        .value_kind:     hidden_remainder_y
      - .offset:         78
        .size:           2
        .value_kind:     hidden_remainder_z
      - .offset:         96
        .size:           8
        .value_kind:     hidden_global_offset_x
      - .offset:         104
        .size:           8
        .value_kind:     hidden_global_offset_y
      - .offset:         112
        .size:           8
        .value_kind:     hidden_global_offset_z
      - .offset:         120
        .size:           2
        .value_kind:     hidden_grid_dims
    .group_segment_fixed_size: 0
    .kernarg_segment_align: 8
    .kernarg_segment_size: 312
    .language:       OpenCL C
    .language_version:
      - 2
      - 0
    .max_flat_workgroup_size: 32
    .name:           _Z30fast_hadamard_transform_kernelI37fast_hadamard_transform_kernel_traitsILi32ELi9EfEEv18HadamardParamsBase
    .private_segment_fixed_size: 0
    .sgpr_count:     20
    .sgpr_spill_count: 0
    .symbol:         _Z30fast_hadamard_transform_kernelI37fast_hadamard_transform_kernel_traitsILi32ELi9EfEEv18HadamardParamsBase.kd
    .uniform_work_group_size: 1
    .uses_dynamic_stack: false
    .vgpr_count:     43
    .vgpr_spill_count: 0
    .wavefront_size: 32
  - .args:
      - .offset:         0
        .size:           56
        .value_kind:     by_value
      - .offset:         56
        .size:           4
        .value_kind:     hidden_block_count_x
      - .offset:         60
        .size:           4
        .value_kind:     hidden_block_count_y
      - .offset:         64
        .size:           4
        .value_kind:     hidden_block_count_z
      - .offset:         68
        .size:           2
        .value_kind:     hidden_group_size_x
      - .offset:         70
        .size:           2
        .value_kind:     hidden_group_size_y
      - .offset:         72
        .size:           2
        .value_kind:     hidden_group_size_z
      - .offset:         74
        .size:           2
        .value_kind:     hidden_remainder_x
      - .offset:         76
        .size:           2
        .value_kind:     hidden_remainder_y
      - .offset:         78
        .size:           2
        .value_kind:     hidden_remainder_z
      - .offset:         96
        .size:           8
        .value_kind:     hidden_global_offset_x
      - .offset:         104
        .size:           8
        .value_kind:     hidden_global_offset_y
      - .offset:         112
        .size:           8
        .value_kind:     hidden_global_offset_z
      - .offset:         120
        .size:           2
        .value_kind:     hidden_grid_dims
      - .offset:         176
        .size:           4
        .value_kind:     hidden_dynamic_lds_size
    .group_segment_fixed_size: 0
    .kernarg_segment_align: 8
    .kernarg_segment_size: 312
    .language:       OpenCL C
    .language_version:
      - 2
      - 0
    .max_flat_workgroup_size: 128
    .name:           _Z30fast_hadamard_transform_kernelI37fast_hadamard_transform_kernel_traitsILi128ELi10EfEEv18HadamardParamsBase
    .private_segment_fixed_size: 0
    .sgpr_count:     18
    .sgpr_spill_count: 0
    .symbol:         _Z30fast_hadamard_transform_kernelI37fast_hadamard_transform_kernel_traitsILi128ELi10EfEEv18HadamardParamsBase.kd
    .uniform_work_group_size: 1
    .uses_dynamic_stack: false
    .vgpr_count:     26
    .vgpr_spill_count: 0
    .wavefront_size: 32
  - .args:
      - .offset:         0
        .size:           56
        .value_kind:     by_value
      - .offset:         56
        .size:           4
        .value_kind:     hidden_block_count_x
      - .offset:         60
        .size:           4
        .value_kind:     hidden_block_count_y
      - .offset:         64
        .size:           4
        .value_kind:     hidden_block_count_z
      - .offset:         68
        .size:           2
        .value_kind:     hidden_group_size_x
      - .offset:         70
        .size:           2
        .value_kind:     hidden_group_size_y
      - .offset:         72
        .size:           2
        .value_kind:     hidden_group_size_z
      - .offset:         74
        .size:           2
        .value_kind:     hidden_remainder_x
      - .offset:         76
        .size:           2
        .value_kind:     hidden_remainder_y
      - .offset:         78
        .size:           2
        .value_kind:     hidden_remainder_z
      - .offset:         96
        .size:           8
        .value_kind:     hidden_global_offset_x
      - .offset:         104
        .size:           8
        .value_kind:     hidden_global_offset_y
      - .offset:         112
        .size:           8
        .value_kind:     hidden_global_offset_z
      - .offset:         120
        .size:           2
        .value_kind:     hidden_grid_dims
      - .offset:         176
        .size:           4
        .value_kind:     hidden_dynamic_lds_size
    .group_segment_fixed_size: 0
    .kernarg_segment_align: 8
    .kernarg_segment_size: 312
    .language:       OpenCL C
    .language_version:
      - 2
      - 0
    .max_flat_workgroup_size: 256
    .name:           _Z30fast_hadamard_transform_kernelI37fast_hadamard_transform_kernel_traitsILi256ELi11EfEEv18HadamardParamsBase
    .private_segment_fixed_size: 0
    .sgpr_count:     18
    .sgpr_spill_count: 0
    .symbol:         _Z30fast_hadamard_transform_kernelI37fast_hadamard_transform_kernel_traitsILi256ELi11EfEEv18HadamardParamsBase.kd
    .uniform_work_group_size: 1
    .uses_dynamic_stack: false
    .vgpr_count:     27
    .vgpr_spill_count: 0
    .wavefront_size: 32
  - .args:
      - .offset:         0
        .size:           56
        .value_kind:     by_value
      - .offset:         56
        .size:           4
        .value_kind:     hidden_block_count_x
      - .offset:         60
        .size:           4
        .value_kind:     hidden_block_count_y
      - .offset:         64
        .size:           4
        .value_kind:     hidden_block_count_z
      - .offset:         68
        .size:           2
        .value_kind:     hidden_group_size_x
      - .offset:         70
        .size:           2
        .value_kind:     hidden_group_size_y
      - .offset:         72
        .size:           2
        .value_kind:     hidden_group_size_z
      - .offset:         74
        .size:           2
        .value_kind:     hidden_remainder_x
      - .offset:         76
        .size:           2
        .value_kind:     hidden_remainder_y
      - .offset:         78
        .size:           2
        .value_kind:     hidden_remainder_z
      - .offset:         96
        .size:           8
        .value_kind:     hidden_global_offset_x
      - .offset:         104
        .size:           8
        .value_kind:     hidden_global_offset_y
      - .offset:         112
        .size:           8
        .value_kind:     hidden_global_offset_z
      - .offset:         120
        .size:           2
        .value_kind:     hidden_grid_dims
      - .offset:         176
        .size:           4
        .value_kind:     hidden_dynamic_lds_size
    .group_segment_fixed_size: 0
    .kernarg_segment_align: 8
    .kernarg_segment_size: 312
    .language:       OpenCL C
    .language_version:
      - 2
      - 0
    .max_flat_workgroup_size: 256
    .name:           _Z30fast_hadamard_transform_kernelI37fast_hadamard_transform_kernel_traitsILi256ELi12EfEEv18HadamardParamsBase
    .private_segment_fixed_size: 0
    .sgpr_count:     20
    .sgpr_spill_count: 0
    .symbol:         _Z30fast_hadamard_transform_kernelI37fast_hadamard_transform_kernel_traitsILi256ELi12EfEEv18HadamardParamsBase.kd
    .uniform_work_group_size: 1
    .uses_dynamic_stack: false
    .vgpr_count:     45
    .vgpr_spill_count: 0
    .wavefront_size: 32
  - .args:
      - .offset:         0
        .size:           56
        .value_kind:     by_value
      - .offset:         56
        .size:           4
        .value_kind:     hidden_block_count_x
      - .offset:         60
        .size:           4
        .value_kind:     hidden_block_count_y
      - .offset:         64
        .size:           4
        .value_kind:     hidden_block_count_z
      - .offset:         68
        .size:           2
        .value_kind:     hidden_group_size_x
      - .offset:         70
        .size:           2
        .value_kind:     hidden_group_size_y
      - .offset:         72
        .size:           2
        .value_kind:     hidden_group_size_z
      - .offset:         74
        .size:           2
        .value_kind:     hidden_remainder_x
      - .offset:         76
        .size:           2
        .value_kind:     hidden_remainder_y
      - .offset:         78
        .size:           2
        .value_kind:     hidden_remainder_z
      - .offset:         96
        .size:           8
        .value_kind:     hidden_global_offset_x
      - .offset:         104
        .size:           8
        .value_kind:     hidden_global_offset_y
      - .offset:         112
        .size:           8
        .value_kind:     hidden_global_offset_z
      - .offset:         120
        .size:           2
        .value_kind:     hidden_grid_dims
      - .offset:         176
        .size:           4
        .value_kind:     hidden_dynamic_lds_size
    .group_segment_fixed_size: 0
    .kernarg_segment_align: 8
    .kernarg_segment_size: 312
    .language:       OpenCL C
    .language_version:
      - 2
      - 0
    .max_flat_workgroup_size: 256
    .name:           _Z30fast_hadamard_transform_kernelI37fast_hadamard_transform_kernel_traitsILi256ELi13EfEEv18HadamardParamsBase
    .private_segment_fixed_size: 0
    .sgpr_count:     24
    .sgpr_spill_count: 0
    .symbol:         _Z30fast_hadamard_transform_kernelI37fast_hadamard_transform_kernel_traitsILi256ELi13EfEEv18HadamardParamsBase.kd
    .uniform_work_group_size: 1
    .uses_dynamic_stack: false
    .vgpr_count:     72
    .vgpr_spill_count: 0
    .wavefront_size: 32
  - .args:
      - .offset:         0
        .size:           56
        .value_kind:     by_value
      - .offset:         56
        .size:           4
        .value_kind:     hidden_block_count_x
      - .offset:         60
        .size:           4
        .value_kind:     hidden_block_count_y
      - .offset:         64
        .size:           4
        .value_kind:     hidden_block_count_z
      - .offset:         68
        .size:           2
        .value_kind:     hidden_group_size_x
      - .offset:         70
        .size:           2
        .value_kind:     hidden_group_size_y
      - .offset:         72
        .size:           2
        .value_kind:     hidden_group_size_z
      - .offset:         74
        .size:           2
        .value_kind:     hidden_remainder_x
      - .offset:         76
        .size:           2
        .value_kind:     hidden_remainder_y
      - .offset:         78
        .size:           2
        .value_kind:     hidden_remainder_z
      - .offset:         96
        .size:           8
        .value_kind:     hidden_global_offset_x
      - .offset:         104
        .size:           8
        .value_kind:     hidden_global_offset_y
      - .offset:         112
        .size:           8
        .value_kind:     hidden_global_offset_z
      - .offset:         120
        .size:           2
        .value_kind:     hidden_grid_dims
      - .offset:         176
        .size:           4
        .value_kind:     hidden_dynamic_lds_size
    .group_segment_fixed_size: 0
    .kernarg_segment_align: 8
    .kernarg_segment_size: 312
    .language:       OpenCL C
    .language_version:
      - 2
      - 0
    .max_flat_workgroup_size: 256
    .name:           _Z30fast_hadamard_transform_kernelI37fast_hadamard_transform_kernel_traitsILi256ELi14EfEEv18HadamardParamsBase
    .private_segment_fixed_size: 0
    .sgpr_count:     32
    .sgpr_spill_count: 0
    .symbol:         _Z30fast_hadamard_transform_kernelI37fast_hadamard_transform_kernel_traitsILi256ELi14EfEEv18HadamardParamsBase.kd
    .uniform_work_group_size: 1
    .uses_dynamic_stack: false
    .vgpr_count:     153
    .vgpr_spill_count: 0
    .wavefront_size: 32
  - .args:
      - .offset:         0
        .size:           56
        .value_kind:     by_value
      - .offset:         56
        .size:           4
        .value_kind:     hidden_block_count_x
      - .offset:         60
        .size:           4
        .value_kind:     hidden_block_count_y
      - .offset:         64
        .size:           4
        .value_kind:     hidden_block_count_z
      - .offset:         68
        .size:           2
        .value_kind:     hidden_group_size_x
      - .offset:         70
        .size:           2
        .value_kind:     hidden_group_size_y
      - .offset:         72
        .size:           2
        .value_kind:     hidden_group_size_z
      - .offset:         74
        .size:           2
        .value_kind:     hidden_remainder_x
      - .offset:         76
        .size:           2
        .value_kind:     hidden_remainder_y
      - .offset:         78
        .size:           2
        .value_kind:     hidden_remainder_z
      - .offset:         96
        .size:           8
        .value_kind:     hidden_global_offset_x
      - .offset:         104
        .size:           8
        .value_kind:     hidden_global_offset_y
      - .offset:         112
        .size:           8
        .value_kind:     hidden_global_offset_z
      - .offset:         120
        .size:           2
        .value_kind:     hidden_grid_dims
      - .offset:         176
        .size:           4
        .value_kind:     hidden_dynamic_lds_size
    .group_segment_fixed_size: 0
    .kernarg_segment_align: 8
    .kernarg_segment_size: 312
    .language:       OpenCL C
    .language_version:
      - 2
      - 0
    .max_flat_workgroup_size: 256
    .name:           _Z30fast_hadamard_transform_kernelI37fast_hadamard_transform_kernel_traitsILi256ELi15EfEEv18HadamardParamsBase
    .private_segment_fixed_size: 0
    .sgpr_count:     48
    .sgpr_spill_count: 0
    .symbol:         _Z30fast_hadamard_transform_kernelI37fast_hadamard_transform_kernel_traitsILi256ELi15EfEEv18HadamardParamsBase.kd
    .uniform_work_group_size: 1
    .uses_dynamic_stack: false
    .vgpr_count:     309
    .vgpr_spill_count: 0
    .wavefront_size: 32
  - .args:
      - .offset:         0
        .size:           56
        .value_kind:     by_value
    .group_segment_fixed_size: 0
    .kernarg_segment_align: 8
    .kernarg_segment_size: 56
    .language:       OpenCL C
    .language_version:
      - 2
      - 0
    .max_flat_workgroup_size: 1
    .name:           _Z30fast_hadamard_transform_kernelI37fast_hadamard_transform_kernel_traitsILi1ELi3E6__halfEEv18HadamardParamsBase
    .private_segment_fixed_size: 0
    .sgpr_count:     19
    .sgpr_spill_count: 0
    .symbol:         _Z30fast_hadamard_transform_kernelI37fast_hadamard_transform_kernel_traitsILi1ELi3E6__halfEEv18HadamardParamsBase.kd
    .uniform_work_group_size: 1
    .uses_dynamic_stack: false
    .vgpr_count:     15
    .vgpr_spill_count: 0
    .wavefront_size: 32
  - .args:
      - .offset:         0
        .size:           56
        .value_kind:     by_value
    .group_segment_fixed_size: 0
    .kernarg_segment_align: 8
    .kernarg_segment_size: 56
    .language:       OpenCL C
    .language_version:
      - 2
      - 0
    .max_flat_workgroup_size: 2
    .name:           _Z30fast_hadamard_transform_kernelI37fast_hadamard_transform_kernel_traitsILi2ELi4E6__halfEEv18HadamardParamsBase
    .private_segment_fixed_size: 0
    .sgpr_count:     13
    .sgpr_spill_count: 0
    .symbol:         _Z30fast_hadamard_transform_kernelI37fast_hadamard_transform_kernel_traitsILi2ELi4E6__halfEEv18HadamardParamsBase.kd
    .uniform_work_group_size: 1
    .uses_dynamic_stack: false
    .vgpr_count:     17
    .vgpr_spill_count: 0
    .wavefront_size: 32
  - .args:
      - .offset:         0
        .size:           56
        .value_kind:     by_value
    .group_segment_fixed_size: 0
    .kernarg_segment_align: 8
    .kernarg_segment_size: 56
    .language:       OpenCL C
    .language_version:
      - 2
      - 0
    .max_flat_workgroup_size: 4
    .name:           _Z30fast_hadamard_transform_kernelI37fast_hadamard_transform_kernel_traitsILi4ELi5E6__halfEEv18HadamardParamsBase
    .private_segment_fixed_size: 0
    .sgpr_count:     13
    .sgpr_spill_count: 0
    .symbol:         _Z30fast_hadamard_transform_kernelI37fast_hadamard_transform_kernel_traitsILi4ELi5E6__halfEEv18HadamardParamsBase.kd
    .uniform_work_group_size: 1
    .uses_dynamic_stack: false
    .vgpr_count:     20
    .vgpr_spill_count: 0
    .wavefront_size: 32
  - .args:
      - .offset:         0
        .size:           56
        .value_kind:     by_value
    .group_segment_fixed_size: 0
    .kernarg_segment_align: 8
    .kernarg_segment_size: 56
    .language:       OpenCL C
    .language_version:
      - 2
      - 0
    .max_flat_workgroup_size: 8
    .name:           _Z30fast_hadamard_transform_kernelI37fast_hadamard_transform_kernel_traitsILi8ELi6E6__halfEEv18HadamardParamsBase
    .private_segment_fixed_size: 0
    .sgpr_count:     13
    .sgpr_spill_count: 0
    .symbol:         _Z30fast_hadamard_transform_kernelI37fast_hadamard_transform_kernel_traitsILi8ELi6E6__halfEEv18HadamardParamsBase.kd
    .uniform_work_group_size: 1
    .uses_dynamic_stack: false
    .vgpr_count:     22
    .vgpr_spill_count: 0
    .wavefront_size: 32
  - .args:
      - .offset:         0
        .size:           56
        .value_kind:     by_value
    .group_segment_fixed_size: 0
    .kernarg_segment_align: 8
    .kernarg_segment_size: 56
    .language:       OpenCL C
    .language_version:
      - 2
      - 0
    .max_flat_workgroup_size: 16
    .name:           _Z30fast_hadamard_transform_kernelI37fast_hadamard_transform_kernel_traitsILi16ELi7E6__halfEEv18HadamardParamsBase
    .private_segment_fixed_size: 0
    .sgpr_count:     13
    .sgpr_spill_count: 0
    .symbol:         _Z30fast_hadamard_transform_kernelI37fast_hadamard_transform_kernel_traitsILi16ELi7E6__halfEEv18HadamardParamsBase.kd
    .uniform_work_group_size: 1
    .uses_dynamic_stack: false
    .vgpr_count:     23
    .vgpr_spill_count: 0
    .wavefront_size: 32
  - .args:
      - .offset:         0
        .size:           56
        .value_kind:     by_value
    .group_segment_fixed_size: 0
    .kernarg_segment_align: 8
    .kernarg_segment_size: 56
    .language:       OpenCL C
    .language_version:
      - 2
      - 0
    .max_flat_workgroup_size: 32
    .name:           _Z30fast_hadamard_transform_kernelI37fast_hadamard_transform_kernel_traitsILi32ELi8E6__halfEEv18HadamardParamsBase
    .private_segment_fixed_size: 0
    .sgpr_count:     13
    .sgpr_spill_count: 0
    .symbol:         _Z30fast_hadamard_transform_kernelI37fast_hadamard_transform_kernel_traitsILi32ELi8E6__halfEEv18HadamardParamsBase.kd
    .uniform_work_group_size: 1
    .uses_dynamic_stack: false
    .vgpr_count:     24
    .vgpr_spill_count: 0
    .wavefront_size: 32
  - .args:
      - .offset:         0
        .size:           56
        .value_kind:     by_value
      - .offset:         56
        .size:           4
        .value_kind:     hidden_block_count_x
      - .offset:         60
        .size:           4
        .value_kind:     hidden_block_count_y
      - .offset:         64
        .size:           4
        .value_kind:     hidden_block_count_z
      - .offset:         68
        .size:           2
        .value_kind:     hidden_group_size_x
      - .offset:         70
        .size:           2
        .value_kind:     hidden_group_size_y
      - .offset:         72
        .size:           2
        .value_kind:     hidden_group_size_z
      - .offset:         74
        .size:           2
        .value_kind:     hidden_remainder_x
      - .offset:         76
        .size:           2
        .value_kind:     hidden_remainder_y
      - .offset:         78
        .size:           2
        .value_kind:     hidden_remainder_z
      - .offset:         96
        .size:           8
        .value_kind:     hidden_global_offset_x
      - .offset:         104
        .size:           8
        .value_kind:     hidden_global_offset_y
      - .offset:         112
        .size:           8
        .value_kind:     hidden_global_offset_z
      - .offset:         120
        .size:           2
        .value_kind:     hidden_grid_dims
    .group_segment_fixed_size: 0
    .kernarg_segment_align: 8
    .kernarg_segment_size: 312
    .language:       OpenCL C
    .language_version:
      - 2
      - 0
    .max_flat_workgroup_size: 32
    .name:           _Z30fast_hadamard_transform_kernelI37fast_hadamard_transform_kernel_traitsILi32ELi9E6__halfEEv18HadamardParamsBase
    .private_segment_fixed_size: 0
    .sgpr_count:     18
    .sgpr_spill_count: 0
    .symbol:         _Z30fast_hadamard_transform_kernelI37fast_hadamard_transform_kernel_traitsILi32ELi9E6__halfEEv18HadamardParamsBase.kd
    .uniform_work_group_size: 1
    .uses_dynamic_stack: false
    .vgpr_count:     40
    .vgpr_spill_count: 0
    .wavefront_size: 32
  - .args:
      - .offset:         0
        .size:           56
        .value_kind:     by_value
    .group_segment_fixed_size: 0
    .kernarg_segment_align: 8
    .kernarg_segment_size: 56
    .language:       OpenCL C
    .language_version:
      - 2
      - 0
    .max_flat_workgroup_size: 128
    .name:           _Z30fast_hadamard_transform_kernelI37fast_hadamard_transform_kernel_traitsILi128ELi10E6__halfEEv18HadamardParamsBase
    .private_segment_fixed_size: 0
    .sgpr_count:     13
    .sgpr_spill_count: 0
    .symbol:         _Z30fast_hadamard_transform_kernelI37fast_hadamard_transform_kernel_traitsILi128ELi10E6__halfEEv18HadamardParamsBase.kd
    .uniform_work_group_size: 1
    .uses_dynamic_stack: false
    .vgpr_count:     25
    .vgpr_spill_count: 0
    .wavefront_size: 32
  - .args:
      - .offset:         0
        .size:           56
        .value_kind:     by_value
    .group_segment_fixed_size: 0
    .kernarg_segment_align: 8
    .kernarg_segment_size: 56
    .language:       OpenCL C
    .language_version:
      - 2
      - 0
    .max_flat_workgroup_size: 256
    .name:           _Z30fast_hadamard_transform_kernelI37fast_hadamard_transform_kernel_traitsILi256ELi11E6__halfEEv18HadamardParamsBase
    .private_segment_fixed_size: 0
    .sgpr_count:     13
    .sgpr_spill_count: 0
    .symbol:         _Z30fast_hadamard_transform_kernelI37fast_hadamard_transform_kernel_traitsILi256ELi11E6__halfEEv18HadamardParamsBase.kd
    .uniform_work_group_size: 1
    .uses_dynamic_stack: false
    .vgpr_count:     26
    .vgpr_spill_count: 0
    .wavefront_size: 32
  - .args:
      - .offset:         0
        .size:           56
        .value_kind:     by_value
      - .offset:         56
        .size:           4
        .value_kind:     hidden_block_count_x
      - .offset:         60
        .size:           4
        .value_kind:     hidden_block_count_y
      - .offset:         64
        .size:           4
        .value_kind:     hidden_block_count_z
      - .offset:         68
        .size:           2
        .value_kind:     hidden_group_size_x
      - .offset:         70
        .size:           2
        .value_kind:     hidden_group_size_y
      - .offset:         72
        .size:           2
        .value_kind:     hidden_group_size_z
      - .offset:         74
        .size:           2
        .value_kind:     hidden_remainder_x
      - .offset:         76
        .size:           2
        .value_kind:     hidden_remainder_y
      - .offset:         78
        .size:           2
        .value_kind:     hidden_remainder_z
      - .offset:         96
        .size:           8
        .value_kind:     hidden_global_offset_x
      - .offset:         104
        .size:           8
        .value_kind:     hidden_global_offset_y
      - .offset:         112
        .size:           8
        .value_kind:     hidden_global_offset_z
      - .offset:         120
        .size:           2
        .value_kind:     hidden_grid_dims
      - .offset:         176
        .size:           4
        .value_kind:     hidden_dynamic_lds_size
    .group_segment_fixed_size: 0
    .kernarg_segment_align: 8
    .kernarg_segment_size: 312
    .language:       OpenCL C
    .language_version:
      - 2
      - 0
    .max_flat_workgroup_size: 256
    .name:           _Z30fast_hadamard_transform_kernelI37fast_hadamard_transform_kernel_traitsILi256ELi12E6__halfEEv18HadamardParamsBase
    .private_segment_fixed_size: 0
    .sgpr_count:     18
    .sgpr_spill_count: 0
    .symbol:         _Z30fast_hadamard_transform_kernelI37fast_hadamard_transform_kernel_traitsILi256ELi12E6__halfEEv18HadamardParamsBase.kd
    .uniform_work_group_size: 1
    .uses_dynamic_stack: false
    .vgpr_count:     46
    .vgpr_spill_count: 0
    .wavefront_size: 32
  - .args:
      - .offset:         0
        .size:           56
        .value_kind:     by_value
      - .offset:         56
        .size:           4
        .value_kind:     hidden_block_count_x
      - .offset:         60
        .size:           4
        .value_kind:     hidden_block_count_y
      - .offset:         64
        .size:           4
        .value_kind:     hidden_block_count_z
      - .offset:         68
        .size:           2
        .value_kind:     hidden_group_size_x
      - .offset:         70
        .size:           2
        .value_kind:     hidden_group_size_y
      - .offset:         72
        .size:           2
        .value_kind:     hidden_group_size_z
      - .offset:         74
        .size:           2
        .value_kind:     hidden_remainder_x
      - .offset:         76
        .size:           2
        .value_kind:     hidden_remainder_y
      - .offset:         78
        .size:           2
        .value_kind:     hidden_remainder_z
      - .offset:         96
        .size:           8
        .value_kind:     hidden_global_offset_x
      - .offset:         104
        .size:           8
        .value_kind:     hidden_global_offset_y
      - .offset:         112
        .size:           8
        .value_kind:     hidden_global_offset_z
      - .offset:         120
        .size:           2
        .value_kind:     hidden_grid_dims
      - .offset:         176
        .size:           4
        .value_kind:     hidden_dynamic_lds_size
    .group_segment_fixed_size: 0
    .kernarg_segment_align: 8
    .kernarg_segment_size: 312
    .language:       OpenCL C
    .language_version:
      - 2
      - 0
    .max_flat_workgroup_size: 256
    .name:           _Z30fast_hadamard_transform_kernelI37fast_hadamard_transform_kernel_traitsILi256ELi13E6__halfEEv18HadamardParamsBase
    .private_segment_fixed_size: 0
    .sgpr_count:     20
    .sgpr_spill_count: 0
    .symbol:         _Z30fast_hadamard_transform_kernelI37fast_hadamard_transform_kernel_traitsILi256ELi13E6__halfEEv18HadamardParamsBase.kd
    .uniform_work_group_size: 1
    .uses_dynamic_stack: false
    .vgpr_count:     66
    .vgpr_spill_count: 0
    .wavefront_size: 32
  - .args:
      - .offset:         0
        .size:           56
        .value_kind:     by_value
      - .offset:         56
        .size:           4
        .value_kind:     hidden_block_count_x
      - .offset:         60
        .size:           4
        .value_kind:     hidden_block_count_y
      - .offset:         64
        .size:           4
        .value_kind:     hidden_block_count_z
      - .offset:         68
        .size:           2
        .value_kind:     hidden_group_size_x
      - .offset:         70
        .size:           2
        .value_kind:     hidden_group_size_y
      - .offset:         72
        .size:           2
        .value_kind:     hidden_group_size_z
      - .offset:         74
        .size:           2
        .value_kind:     hidden_remainder_x
      - .offset:         76
        .size:           2
        .value_kind:     hidden_remainder_y
      - .offset:         78
        .size:           2
        .value_kind:     hidden_remainder_z
      - .offset:         96
        .size:           8
        .value_kind:     hidden_global_offset_x
      - .offset:         104
        .size:           8
        .value_kind:     hidden_global_offset_y
      - .offset:         112
        .size:           8
        .value_kind:     hidden_global_offset_z
      - .offset:         120
        .size:           2
        .value_kind:     hidden_grid_dims
      - .offset:         176
        .size:           4
        .value_kind:     hidden_dynamic_lds_size
    .group_segment_fixed_size: 0
    .kernarg_segment_align: 8
    .kernarg_segment_size: 312
    .language:       OpenCL C
    .language_version:
      - 2
      - 0
    .max_flat_workgroup_size: 256
    .name:           _Z30fast_hadamard_transform_kernelI37fast_hadamard_transform_kernel_traitsILi256ELi14E6__halfEEv18HadamardParamsBase
    .private_segment_fixed_size: 0
    .sgpr_count:     24
    .sgpr_spill_count: 0
    .symbol:         _Z30fast_hadamard_transform_kernelI37fast_hadamard_transform_kernel_traitsILi256ELi14E6__halfEEv18HadamardParamsBase.kd
    .uniform_work_group_size: 1
    .uses_dynamic_stack: false
    .vgpr_count:     135
    .vgpr_spill_count: 0
    .wavefront_size: 32
  - .args:
      - .offset:         0
        .size:           56
        .value_kind:     by_value
      - .offset:         56
        .size:           4
        .value_kind:     hidden_block_count_x
      - .offset:         60
        .size:           4
        .value_kind:     hidden_block_count_y
      - .offset:         64
        .size:           4
        .value_kind:     hidden_block_count_z
      - .offset:         68
        .size:           2
        .value_kind:     hidden_group_size_x
      - .offset:         70
        .size:           2
        .value_kind:     hidden_group_size_y
      - .offset:         72
        .size:           2
        .value_kind:     hidden_group_size_z
      - .offset:         74
        .size:           2
        .value_kind:     hidden_remainder_x
      - .offset:         76
        .size:           2
        .value_kind:     hidden_remainder_y
      - .offset:         78
        .size:           2
        .value_kind:     hidden_remainder_z
      - .offset:         96
        .size:           8
        .value_kind:     hidden_global_offset_x
      - .offset:         104
        .size:           8
        .value_kind:     hidden_global_offset_y
      - .offset:         112
        .size:           8
        .value_kind:     hidden_global_offset_z
      - .offset:         120
        .size:           2
        .value_kind:     hidden_grid_dims
      - .offset:         176
        .size:           4
        .value_kind:     hidden_dynamic_lds_size
    .group_segment_fixed_size: 0
    .kernarg_segment_align: 8
    .kernarg_segment_size: 312
    .language:       OpenCL C
    .language_version:
      - 2
      - 0
    .max_flat_workgroup_size: 256
    .name:           _Z30fast_hadamard_transform_kernelI37fast_hadamard_transform_kernel_traitsILi256ELi15E6__halfEEv18HadamardParamsBase
    .private_segment_fixed_size: 0
    .sgpr_count:     32
    .sgpr_spill_count: 0
    .symbol:         _Z30fast_hadamard_transform_kernelI37fast_hadamard_transform_kernel_traitsILi256ELi15E6__halfEEv18HadamardParamsBase.kd
    .uniform_work_group_size: 1
    .uses_dynamic_stack: false
    .vgpr_count:     289
    .vgpr_spill_count: 0
    .wavefront_size: 32
  - .args:
      - .offset:         0
        .size:           56
        .value_kind:     by_value
    .group_segment_fixed_size: 0
    .kernarg_segment_align: 8
    .kernarg_segment_size: 56
    .language:       OpenCL C
    .language_version:
      - 2
      - 0
    .max_flat_workgroup_size: 1
    .name:           _Z30fast_hadamard_transform_kernelI37fast_hadamard_transform_kernel_traitsILi1ELi3E14__hip_bfloat16EEv18HadamardParamsBase
    .private_segment_fixed_size: 0
    .sgpr_count:     19
    .sgpr_spill_count: 0
    .symbol:         _Z30fast_hadamard_transform_kernelI37fast_hadamard_transform_kernel_traitsILi1ELi3E14__hip_bfloat16EEv18HadamardParamsBase.kd
    .uniform_work_group_size: 1
    .uses_dynamic_stack: false
    .vgpr_count:     12
    .vgpr_spill_count: 0
    .wavefront_size: 32
  - .args:
      - .offset:         0
        .size:           56
        .value_kind:     by_value
    .group_segment_fixed_size: 0
    .kernarg_segment_align: 8
    .kernarg_segment_size: 56
    .language:       OpenCL C
    .language_version:
      - 2
      - 0
    .max_flat_workgroup_size: 2
    .name:           _Z30fast_hadamard_transform_kernelI37fast_hadamard_transform_kernel_traitsILi2ELi4E14__hip_bfloat16EEv18HadamardParamsBase
    .private_segment_fixed_size: 0
    .sgpr_count:     13
    .sgpr_spill_count: 0
    .symbol:         _Z30fast_hadamard_transform_kernelI37fast_hadamard_transform_kernel_traitsILi2ELi4E14__hip_bfloat16EEv18HadamardParamsBase.kd
    .uniform_work_group_size: 1
    .uses_dynamic_stack: false
    .vgpr_count:     19
    .vgpr_spill_count: 0
    .wavefront_size: 32
  - .args:
      - .offset:         0
        .size:           56
        .value_kind:     by_value
    .group_segment_fixed_size: 0
    .kernarg_segment_align: 8
    .kernarg_segment_size: 56
    .language:       OpenCL C
    .language_version:
      - 2
      - 0
    .max_flat_workgroup_size: 4
    .name:           _Z30fast_hadamard_transform_kernelI37fast_hadamard_transform_kernel_traitsILi4ELi5E14__hip_bfloat16EEv18HadamardParamsBase
    .private_segment_fixed_size: 0
    .sgpr_count:     13
    .sgpr_spill_count: 0
    .symbol:         _Z30fast_hadamard_transform_kernelI37fast_hadamard_transform_kernel_traitsILi4ELi5E14__hip_bfloat16EEv18HadamardParamsBase.kd
    .uniform_work_group_size: 1
    .uses_dynamic_stack: false
    .vgpr_count:     20
    .vgpr_spill_count: 0
    .wavefront_size: 32
  - .args:
      - .offset:         0
        .size:           56
        .value_kind:     by_value
    .group_segment_fixed_size: 0
    .kernarg_segment_align: 8
    .kernarg_segment_size: 56
    .language:       OpenCL C
    .language_version:
      - 2
      - 0
    .max_flat_workgroup_size: 8
    .name:           _Z30fast_hadamard_transform_kernelI37fast_hadamard_transform_kernel_traitsILi8ELi6E14__hip_bfloat16EEv18HadamardParamsBase
    .private_segment_fixed_size: 0
    .sgpr_count:     13
    .sgpr_spill_count: 0
    .symbol:         _Z30fast_hadamard_transform_kernelI37fast_hadamard_transform_kernel_traitsILi8ELi6E14__hip_bfloat16EEv18HadamardParamsBase.kd
    .uniform_work_group_size: 1
    .uses_dynamic_stack: false
    .vgpr_count:     23
    .vgpr_spill_count: 0
    .wavefront_size: 32
  - .args:
      - .offset:         0
        .size:           56
        .value_kind:     by_value
    .group_segment_fixed_size: 0
    .kernarg_segment_align: 8
    .kernarg_segment_size: 56
    .language:       OpenCL C
    .language_version:
      - 2
      - 0
    .max_flat_workgroup_size: 16
    .name:           _Z30fast_hadamard_transform_kernelI37fast_hadamard_transform_kernel_traitsILi16ELi7E14__hip_bfloat16EEv18HadamardParamsBase
    .private_segment_fixed_size: 0
    .sgpr_count:     13
    .sgpr_spill_count: 0
    .symbol:         _Z30fast_hadamard_transform_kernelI37fast_hadamard_transform_kernel_traitsILi16ELi7E14__hip_bfloat16EEv18HadamardParamsBase.kd
    .uniform_work_group_size: 1
    .uses_dynamic_stack: false
    .vgpr_count:     23
    .vgpr_spill_count: 0
    .wavefront_size: 32
  - .args:
      - .offset:         0
        .size:           56
        .value_kind:     by_value
    .group_segment_fixed_size: 0
    .kernarg_segment_align: 8
    .kernarg_segment_size: 56
    .language:       OpenCL C
    .language_version:
      - 2
      - 0
    .max_flat_workgroup_size: 32
    .name:           _Z30fast_hadamard_transform_kernelI37fast_hadamard_transform_kernel_traitsILi32ELi8E14__hip_bfloat16EEv18HadamardParamsBase
    .private_segment_fixed_size: 0
    .sgpr_count:     13
    .sgpr_spill_count: 0
    .symbol:         _Z30fast_hadamard_transform_kernelI37fast_hadamard_transform_kernel_traitsILi32ELi8E14__hip_bfloat16EEv18HadamardParamsBase.kd
    .uniform_work_group_size: 1
    .uses_dynamic_stack: false
    .vgpr_count:     24
    .vgpr_spill_count: 0
    .wavefront_size: 32
  - .args:
      - .offset:         0
        .size:           56
        .value_kind:     by_value
      - .offset:         56
        .size:           4
        .value_kind:     hidden_block_count_x
      - .offset:         60
        .size:           4
        .value_kind:     hidden_block_count_y
      - .offset:         64
        .size:           4
        .value_kind:     hidden_block_count_z
      - .offset:         68
        .size:           2
        .value_kind:     hidden_group_size_x
      - .offset:         70
        .size:           2
        .value_kind:     hidden_group_size_y
      - .offset:         72
        .size:           2
        .value_kind:     hidden_group_size_z
      - .offset:         74
        .size:           2
        .value_kind:     hidden_remainder_x
      - .offset:         76
        .size:           2
        .value_kind:     hidden_remainder_y
      - .offset:         78
        .size:           2
        .value_kind:     hidden_remainder_z
      - .offset:         96
        .size:           8
        .value_kind:     hidden_global_offset_x
      - .offset:         104
        .size:           8
        .value_kind:     hidden_global_offset_y
      - .offset:         112
        .size:           8
        .value_kind:     hidden_global_offset_z
      - .offset:         120
        .size:           2
        .value_kind:     hidden_grid_dims
    .group_segment_fixed_size: 0
    .kernarg_segment_align: 8
    .kernarg_segment_size: 312
    .language:       OpenCL C
    .language_version:
      - 2
      - 0
    .max_flat_workgroup_size: 32
    .name:           _Z30fast_hadamard_transform_kernelI37fast_hadamard_transform_kernel_traitsILi32ELi9E14__hip_bfloat16EEv18HadamardParamsBase
    .private_segment_fixed_size: 0
    .sgpr_count:     18
    .sgpr_spill_count: 0
    .symbol:         _Z30fast_hadamard_transform_kernelI37fast_hadamard_transform_kernel_traitsILi32ELi9E14__hip_bfloat16EEv18HadamardParamsBase.kd
    .uniform_work_group_size: 1
    .uses_dynamic_stack: false
    .vgpr_count:     40
    .vgpr_spill_count: 0
    .wavefront_size: 32
  - .args:
      - .offset:         0
        .size:           56
        .value_kind:     by_value
    .group_segment_fixed_size: 0
    .kernarg_segment_align: 8
    .kernarg_segment_size: 56
    .language:       OpenCL C
    .language_version:
      - 2
      - 0
    .max_flat_workgroup_size: 128
    .name:           _Z30fast_hadamard_transform_kernelI37fast_hadamard_transform_kernel_traitsILi128ELi10E14__hip_bfloat16EEv18HadamardParamsBase
    .private_segment_fixed_size: 0
    .sgpr_count:     13
    .sgpr_spill_count: 0
    .symbol:         _Z30fast_hadamard_transform_kernelI37fast_hadamard_transform_kernel_traitsILi128ELi10E14__hip_bfloat16EEv18HadamardParamsBase.kd
    .uniform_work_group_size: 1
    .uses_dynamic_stack: false
    .vgpr_count:     25
    .vgpr_spill_count: 0
    .wavefront_size: 32
  - .args:
      - .offset:         0
        .size:           56
        .value_kind:     by_value
    .group_segment_fixed_size: 0
    .kernarg_segment_align: 8
    .kernarg_segment_size: 56
    .language:       OpenCL C
    .language_version:
      - 2
      - 0
    .max_flat_workgroup_size: 256
    .name:           _Z30fast_hadamard_transform_kernelI37fast_hadamard_transform_kernel_traitsILi256ELi11E14__hip_bfloat16EEv18HadamardParamsBase
    .private_segment_fixed_size: 0
    .sgpr_count:     13
    .sgpr_spill_count: 0
    .symbol:         _Z30fast_hadamard_transform_kernelI37fast_hadamard_transform_kernel_traitsILi256ELi11E14__hip_bfloat16EEv18HadamardParamsBase.kd
    .uniform_work_group_size: 1
    .uses_dynamic_stack: false
    .vgpr_count:     26
    .vgpr_spill_count: 0
    .wavefront_size: 32
  - .args:
      - .offset:         0
        .size:           56
        .value_kind:     by_value
      - .offset:         56
        .size:           4
        .value_kind:     hidden_block_count_x
      - .offset:         60
        .size:           4
        .value_kind:     hidden_block_count_y
      - .offset:         64
        .size:           4
        .value_kind:     hidden_block_count_z
      - .offset:         68
        .size:           2
        .value_kind:     hidden_group_size_x
      - .offset:         70
        .size:           2
        .value_kind:     hidden_group_size_y
      - .offset:         72
        .size:           2
        .value_kind:     hidden_group_size_z
      - .offset:         74
        .size:           2
        .value_kind:     hidden_remainder_x
      - .offset:         76
        .size:           2
        .value_kind:     hidden_remainder_y
      - .offset:         78
        .size:           2
        .value_kind:     hidden_remainder_z
      - .offset:         96
        .size:           8
        .value_kind:     hidden_global_offset_x
      - .offset:         104
        .size:           8
        .value_kind:     hidden_global_offset_y
      - .offset:         112
        .size:           8
        .value_kind:     hidden_global_offset_z
      - .offset:         120
        .size:           2
        .value_kind:     hidden_grid_dims
      - .offset:         176
        .size:           4
        .value_kind:     hidden_dynamic_lds_size
    .group_segment_fixed_size: 0
    .kernarg_segment_align: 8
    .kernarg_segment_size: 312
    .language:       OpenCL C
    .language_version:
      - 2
      - 0
    .max_flat_workgroup_size: 256
    .name:           _Z30fast_hadamard_transform_kernelI37fast_hadamard_transform_kernel_traitsILi256ELi12E14__hip_bfloat16EEv18HadamardParamsBase
    .private_segment_fixed_size: 0
    .sgpr_count:     18
    .sgpr_spill_count: 0
    .symbol:         _Z30fast_hadamard_transform_kernelI37fast_hadamard_transform_kernel_traitsILi256ELi12E14__hip_bfloat16EEv18HadamardParamsBase.kd
    .uniform_work_group_size: 1
    .uses_dynamic_stack: false
    .vgpr_count:     46
    .vgpr_spill_count: 0
    .wavefront_size: 32
  - .args:
      - .offset:         0
        .size:           56
        .value_kind:     by_value
      - .offset:         56
        .size:           4
        .value_kind:     hidden_block_count_x
      - .offset:         60
        .size:           4
        .value_kind:     hidden_block_count_y
      - .offset:         64
        .size:           4
        .value_kind:     hidden_block_count_z
      - .offset:         68
        .size:           2
        .value_kind:     hidden_group_size_x
      - .offset:         70
        .size:           2
        .value_kind:     hidden_group_size_y
      - .offset:         72
        .size:           2
        .value_kind:     hidden_group_size_z
      - .offset:         74
        .size:           2
        .value_kind:     hidden_remainder_x
      - .offset:         76
        .size:           2
        .value_kind:     hidden_remainder_y
      - .offset:         78
        .size:           2
        .value_kind:     hidden_remainder_z
      - .offset:         96
        .size:           8
        .value_kind:     hidden_global_offset_x
      - .offset:         104
        .size:           8
        .value_kind:     hidden_global_offset_y
      - .offset:         112
        .size:           8
        .value_kind:     hidden_global_offset_z
      - .offset:         120
        .size:           2
        .value_kind:     hidden_grid_dims
      - .offset:         176
        .size:           4
        .value_kind:     hidden_dynamic_lds_size
    .group_segment_fixed_size: 0
    .kernarg_segment_align: 8
    .kernarg_segment_size: 312
    .language:       OpenCL C
    .language_version:
      - 2
      - 0
    .max_flat_workgroup_size: 256
    .name:           _Z30fast_hadamard_transform_kernelI37fast_hadamard_transform_kernel_traitsILi256ELi13E14__hip_bfloat16EEv18HadamardParamsBase
    .private_segment_fixed_size: 0
    .sgpr_count:     20
    .sgpr_spill_count: 0
    .symbol:         _Z30fast_hadamard_transform_kernelI37fast_hadamard_transform_kernel_traitsILi256ELi13E14__hip_bfloat16EEv18HadamardParamsBase.kd
    .uniform_work_group_size: 1
    .uses_dynamic_stack: false
    .vgpr_count:     66
    .vgpr_spill_count: 0
    .wavefront_size: 32
  - .args:
      - .offset:         0
        .size:           56
        .value_kind:     by_value
      - .offset:         56
        .size:           4
        .value_kind:     hidden_block_count_x
      - .offset:         60
        .size:           4
        .value_kind:     hidden_block_count_y
      - .offset:         64
        .size:           4
        .value_kind:     hidden_block_count_z
      - .offset:         68
        .size:           2
        .value_kind:     hidden_group_size_x
      - .offset:         70
        .size:           2
        .value_kind:     hidden_group_size_y
      - .offset:         72
        .size:           2
        .value_kind:     hidden_group_size_z
      - .offset:         74
        .size:           2
        .value_kind:     hidden_remainder_x
      - .offset:         76
        .size:           2
        .value_kind:     hidden_remainder_y
      - .offset:         78
        .size:           2
        .value_kind:     hidden_remainder_z
      - .offset:         96
        .size:           8
        .value_kind:     hidden_global_offset_x
      - .offset:         104
        .size:           8
        .value_kind:     hidden_global_offset_y
      - .offset:         112
        .size:           8
        .value_kind:     hidden_global_offset_z
      - .offset:         120
        .size:           2
        .value_kind:     hidden_grid_dims
      - .offset:         176
        .size:           4
        .value_kind:     hidden_dynamic_lds_size
    .group_segment_fixed_size: 0
    .kernarg_segment_align: 8
    .kernarg_segment_size: 312
    .language:       OpenCL C
    .language_version:
      - 2
      - 0
    .max_flat_workgroup_size: 256
    .name:           _Z30fast_hadamard_transform_kernelI37fast_hadamard_transform_kernel_traitsILi256ELi14E14__hip_bfloat16EEv18HadamardParamsBase
    .private_segment_fixed_size: 0
    .sgpr_count:     24
    .sgpr_spill_count: 0
    .symbol:         _Z30fast_hadamard_transform_kernelI37fast_hadamard_transform_kernel_traitsILi256ELi14E14__hip_bfloat16EEv18HadamardParamsBase.kd
    .uniform_work_group_size: 1
    .uses_dynamic_stack: false
    .vgpr_count:     133
    .vgpr_spill_count: 0
    .wavefront_size: 32
  - .args:
      - .offset:         0
        .size:           56
        .value_kind:     by_value
      - .offset:         56
        .size:           4
        .value_kind:     hidden_block_count_x
      - .offset:         60
        .size:           4
        .value_kind:     hidden_block_count_y
      - .offset:         64
        .size:           4
        .value_kind:     hidden_block_count_z
      - .offset:         68
        .size:           2
        .value_kind:     hidden_group_size_x
      - .offset:         70
        .size:           2
        .value_kind:     hidden_group_size_y
      - .offset:         72
        .size:           2
        .value_kind:     hidden_group_size_z
      - .offset:         74
        .size:           2
        .value_kind:     hidden_remainder_x
      - .offset:         76
        .size:           2
        .value_kind:     hidden_remainder_y
      - .offset:         78
        .size:           2
        .value_kind:     hidden_remainder_z
      - .offset:         96
        .size:           8
        .value_kind:     hidden_global_offset_x
      - .offset:         104
        .size:           8
        .value_kind:     hidden_global_offset_y
      - .offset:         112
        .size:           8
        .value_kind:     hidden_global_offset_z
      - .offset:         120
        .size:           2
        .value_kind:     hidden_grid_dims
      - .offset:         176
        .size:           4
        .value_kind:     hidden_dynamic_lds_size
    .group_segment_fixed_size: 0
    .kernarg_segment_align: 8
    .kernarg_segment_size: 312
    .language:       OpenCL C
    .language_version:
      - 2
      - 0
    .max_flat_workgroup_size: 256
    .name:           _Z30fast_hadamard_transform_kernelI37fast_hadamard_transform_kernel_traitsILi256ELi15E14__hip_bfloat16EEv18HadamardParamsBase
    .private_segment_fixed_size: 0
    .sgpr_count:     32
    .sgpr_spill_count: 0
    .symbol:         _Z30fast_hadamard_transform_kernelI37fast_hadamard_transform_kernel_traitsILi256ELi15E14__hip_bfloat16EEv18HadamardParamsBase.kd
    .uniform_work_group_size: 1
    .uses_dynamic_stack: false
    .vgpr_count:     289
    .vgpr_spill_count: 0
    .wavefront_size: 32
amdhsa.target:   amdgcn-amd-amdhsa--gfx1250
amdhsa.version:
  - 1
  - 2
...

	.end_amdgpu_metadata
